;; amdgpu-corpus repo=ROCm/rocFFT kind=compiled arch=gfx1201 opt=O3
	.text
	.amdgcn_target "amdgcn-amd-amdhsa--gfx1201"
	.amdhsa_code_object_version 6
	.protected	fft_rtc_back_len432_factors_3_16_3_3_wgs_54_tpt_27_halfLds_dp_op_CI_CI_sbrr_dirReg ; -- Begin function fft_rtc_back_len432_factors_3_16_3_3_wgs_54_tpt_27_halfLds_dp_op_CI_CI_sbrr_dirReg
	.globl	fft_rtc_back_len432_factors_3_16_3_3_wgs_54_tpt_27_halfLds_dp_op_CI_CI_sbrr_dirReg
	.p2align	8
	.type	fft_rtc_back_len432_factors_3_16_3_3_wgs_54_tpt_27_halfLds_dp_op_CI_CI_sbrr_dirReg,@function
fft_rtc_back_len432_factors_3_16_3_3_wgs_54_tpt_27_halfLds_dp_op_CI_CI_sbrr_dirReg: ; @fft_rtc_back_len432_factors_3_16_3_3_wgs_54_tpt_27_halfLds_dp_op_CI_CI_sbrr_dirReg
; %bb.0:
	s_clause 0x2
	s_load_b128 s[12:15], s[0:1], 0x18
	s_load_b128 s[4:7], s[0:1], 0x0
	;; [unrolled: 1-line block ×3, first 2 shown]
	v_mul_u32_u24_e32 v1, 0x97c, v0
	v_mov_b32_e32 v3, 0
	s_wait_kmcnt 0x0
	s_load_b64 s[18:19], s[12:13], 0x0
	s_load_b64 s[16:17], s[14:15], 0x0
	v_lshrrev_b32_e32 v76, 16, v1
	v_cmp_lt_u64_e64 s2, s[6:7], 2
	v_mov_b32_e32 v1, 0
	v_mov_b32_e32 v2, 0
	;; [unrolled: 1-line block ×3, first 2 shown]
	v_lshl_add_u32 v5, ttmp9, 1, v76
	s_and_b32 vcc_lo, exec_lo, s2
	s_cbranch_vccnz .LBB0_8
; %bb.1:
	s_load_b64 s[2:3], s[0:1], 0x10
	v_mov_b32_e32 v1, 0
	v_mov_b32_e32 v2, 0
	s_add_nc_u64 s[20:21], s[14:15], 8
	s_add_nc_u64 s[22:23], s[12:13], 8
	s_mov_b64 s[24:25], 1
	s_delay_alu instid0(VALU_DEP_1)
	v_dual_mov_b32 v85, v2 :: v_dual_mov_b32 v84, v1
	s_wait_kmcnt 0x0
	s_add_nc_u64 s[26:27], s[2:3], 8
	s_mov_b32 s3, 0
.LBB0_2:                                ; =>This Inner Loop Header: Depth=1
	s_load_b64 s[28:29], s[26:27], 0x0
                                        ; implicit-def: $vgpr86_vgpr87
	s_mov_b32 s2, exec_lo
	s_wait_kmcnt 0x0
	v_or_b32_e32 v4, s29, v6
	s_delay_alu instid0(VALU_DEP_1)
	v_cmpx_ne_u64_e32 0, v[3:4]
	s_wait_alu 0xfffe
	s_xor_b32 s30, exec_lo, s2
	s_cbranch_execz .LBB0_4
; %bb.3:                                ;   in Loop: Header=BB0_2 Depth=1
	s_cvt_f32_u32 s2, s28
	s_cvt_f32_u32 s31, s29
	s_sub_nc_u64 s[36:37], 0, s[28:29]
	s_wait_alu 0xfffe
	s_delay_alu instid0(SALU_CYCLE_1) | instskip(SKIP_1) | instid1(SALU_CYCLE_2)
	s_fmamk_f32 s2, s31, 0x4f800000, s2
	s_wait_alu 0xfffe
	v_s_rcp_f32 s2, s2
	s_delay_alu instid0(TRANS32_DEP_1) | instskip(SKIP_1) | instid1(SALU_CYCLE_2)
	s_mul_f32 s2, s2, 0x5f7ffffc
	s_wait_alu 0xfffe
	s_mul_f32 s31, s2, 0x2f800000
	s_wait_alu 0xfffe
	s_delay_alu instid0(SALU_CYCLE_2) | instskip(SKIP_1) | instid1(SALU_CYCLE_2)
	s_trunc_f32 s31, s31
	s_wait_alu 0xfffe
	s_fmamk_f32 s2, s31, 0xcf800000, s2
	s_cvt_u32_f32 s35, s31
	s_wait_alu 0xfffe
	s_delay_alu instid0(SALU_CYCLE_1) | instskip(SKIP_1) | instid1(SALU_CYCLE_2)
	s_cvt_u32_f32 s34, s2
	s_wait_alu 0xfffe
	s_mul_u64 s[38:39], s[36:37], s[34:35]
	s_wait_alu 0xfffe
	s_mul_hi_u32 s41, s34, s39
	s_mul_i32 s40, s34, s39
	s_mul_hi_u32 s2, s34, s38
	s_mul_i32 s33, s35, s38
	s_wait_alu 0xfffe
	s_add_nc_u64 s[40:41], s[2:3], s[40:41]
	s_mul_hi_u32 s31, s35, s38
	s_mul_hi_u32 s42, s35, s39
	s_add_co_u32 s2, s40, s33
	s_wait_alu 0xfffe
	s_add_co_ci_u32 s2, s41, s31
	s_mul_i32 s38, s35, s39
	s_add_co_ci_u32 s39, s42, 0
	s_wait_alu 0xfffe
	s_add_nc_u64 s[38:39], s[2:3], s[38:39]
	s_wait_alu 0xfffe
	v_add_co_u32 v4, s2, s34, s38
	s_delay_alu instid0(VALU_DEP_1) | instskip(SKIP_1) | instid1(VALU_DEP_1)
	s_cmp_lg_u32 s2, 0
	s_add_co_ci_u32 s35, s35, s39
	v_readfirstlane_b32 s34, v4
	s_wait_alu 0xfffe
	s_delay_alu instid0(VALU_DEP_1)
	s_mul_u64 s[36:37], s[36:37], s[34:35]
	s_wait_alu 0xfffe
	s_mul_hi_u32 s39, s34, s37
	s_mul_i32 s38, s34, s37
	s_mul_hi_u32 s2, s34, s36
	s_mul_i32 s33, s35, s36
	s_wait_alu 0xfffe
	s_add_nc_u64 s[38:39], s[2:3], s[38:39]
	s_mul_hi_u32 s31, s35, s36
	s_mul_hi_u32 s34, s35, s37
	s_wait_alu 0xfffe
	s_add_co_u32 s2, s38, s33
	s_add_co_ci_u32 s2, s39, s31
	s_mul_i32 s36, s35, s37
	s_add_co_ci_u32 s37, s34, 0
	s_wait_alu 0xfffe
	s_add_nc_u64 s[36:37], s[2:3], s[36:37]
	s_wait_alu 0xfffe
	v_add_co_u32 v4, s2, v4, s36
	s_delay_alu instid0(VALU_DEP_1) | instskip(SKIP_1) | instid1(VALU_DEP_1)
	s_cmp_lg_u32 s2, 0
	s_add_co_ci_u32 s2, s35, s37
	v_mul_hi_u32 v13, v5, v4
	s_wait_alu 0xfffe
	v_mad_co_u64_u32 v[7:8], null, v5, s2, 0
	v_mad_co_u64_u32 v[9:10], null, v6, v4, 0
	;; [unrolled: 1-line block ×3, first 2 shown]
	s_delay_alu instid0(VALU_DEP_3) | instskip(SKIP_1) | instid1(VALU_DEP_4)
	v_add_co_u32 v4, vcc_lo, v13, v7
	s_wait_alu 0xfffd
	v_add_co_ci_u32_e32 v7, vcc_lo, 0, v8, vcc_lo
	s_delay_alu instid0(VALU_DEP_2) | instskip(SKIP_1) | instid1(VALU_DEP_2)
	v_add_co_u32 v4, vcc_lo, v4, v9
	s_wait_alu 0xfffd
	v_add_co_ci_u32_e32 v4, vcc_lo, v7, v10, vcc_lo
	s_wait_alu 0xfffd
	v_add_co_ci_u32_e32 v7, vcc_lo, 0, v12, vcc_lo
	s_delay_alu instid0(VALU_DEP_2) | instskip(SKIP_1) | instid1(VALU_DEP_2)
	v_add_co_u32 v4, vcc_lo, v4, v11
	s_wait_alu 0xfffd
	v_add_co_ci_u32_e32 v9, vcc_lo, 0, v7, vcc_lo
	s_delay_alu instid0(VALU_DEP_2) | instskip(SKIP_1) | instid1(VALU_DEP_3)
	v_mul_lo_u32 v10, s29, v4
	v_mad_co_u64_u32 v[7:8], null, s28, v4, 0
	v_mul_lo_u32 v11, s28, v9
	s_delay_alu instid0(VALU_DEP_2) | instskip(NEXT) | instid1(VALU_DEP_2)
	v_sub_co_u32 v7, vcc_lo, v5, v7
	v_add3_u32 v8, v8, v11, v10
	s_delay_alu instid0(VALU_DEP_1) | instskip(SKIP_1) | instid1(VALU_DEP_1)
	v_sub_nc_u32_e32 v10, v6, v8
	s_wait_alu 0xfffd
	v_subrev_co_ci_u32_e64 v10, s2, s29, v10, vcc_lo
	v_add_co_u32 v11, s2, v4, 2
	s_wait_alu 0xf1ff
	v_add_co_ci_u32_e64 v12, s2, 0, v9, s2
	v_sub_co_u32 v13, s2, v7, s28
	v_sub_co_ci_u32_e32 v8, vcc_lo, v6, v8, vcc_lo
	s_wait_alu 0xf1ff
	v_subrev_co_ci_u32_e64 v10, s2, 0, v10, s2
	s_delay_alu instid0(VALU_DEP_3) | instskip(NEXT) | instid1(VALU_DEP_3)
	v_cmp_le_u32_e32 vcc_lo, s28, v13
	v_cmp_eq_u32_e64 s2, s29, v8
	s_wait_alu 0xfffd
	v_cndmask_b32_e64 v13, 0, -1, vcc_lo
	v_cmp_le_u32_e32 vcc_lo, s29, v10
	s_wait_alu 0xfffd
	v_cndmask_b32_e64 v14, 0, -1, vcc_lo
	v_cmp_le_u32_e32 vcc_lo, s28, v7
	;; [unrolled: 3-line block ×3, first 2 shown]
	s_wait_alu 0xfffd
	v_cndmask_b32_e64 v15, 0, -1, vcc_lo
	v_cmp_eq_u32_e32 vcc_lo, s29, v10
	s_wait_alu 0xf1ff
	s_delay_alu instid0(VALU_DEP_2)
	v_cndmask_b32_e64 v7, v15, v7, s2
	s_wait_alu 0xfffd
	v_cndmask_b32_e32 v10, v14, v13, vcc_lo
	v_add_co_u32 v13, vcc_lo, v4, 1
	s_wait_alu 0xfffd
	v_add_co_ci_u32_e32 v14, vcc_lo, 0, v9, vcc_lo
	s_delay_alu instid0(VALU_DEP_3) | instskip(SKIP_1) | instid1(VALU_DEP_2)
	v_cmp_ne_u32_e32 vcc_lo, 0, v10
	s_wait_alu 0xfffd
	v_cndmask_b32_e32 v8, v14, v12, vcc_lo
	v_cndmask_b32_e32 v10, v13, v11, vcc_lo
	v_cmp_ne_u32_e32 vcc_lo, 0, v7
	s_wait_alu 0xfffd
	s_delay_alu instid0(VALU_DEP_2)
	v_dual_cndmask_b32 v87, v9, v8 :: v_dual_cndmask_b32 v86, v4, v10
.LBB0_4:                                ;   in Loop: Header=BB0_2 Depth=1
	s_wait_alu 0xfffe
	s_and_not1_saveexec_b32 s2, s30
	s_cbranch_execz .LBB0_6
; %bb.5:                                ;   in Loop: Header=BB0_2 Depth=1
	v_cvt_f32_u32_e32 v4, s28
	s_sub_co_i32 s30, 0, s28
	v_mov_b32_e32 v87, v3
	s_delay_alu instid0(VALU_DEP_2) | instskip(NEXT) | instid1(TRANS32_DEP_1)
	v_rcp_iflag_f32_e32 v4, v4
	v_mul_f32_e32 v4, 0x4f7ffffe, v4
	s_delay_alu instid0(VALU_DEP_1) | instskip(SKIP_1) | instid1(VALU_DEP_1)
	v_cvt_u32_f32_e32 v4, v4
	s_wait_alu 0xfffe
	v_mul_lo_u32 v7, s30, v4
	s_delay_alu instid0(VALU_DEP_1) | instskip(NEXT) | instid1(VALU_DEP_1)
	v_mul_hi_u32 v7, v4, v7
	v_add_nc_u32_e32 v4, v4, v7
	s_delay_alu instid0(VALU_DEP_1) | instskip(NEXT) | instid1(VALU_DEP_1)
	v_mul_hi_u32 v4, v5, v4
	v_mul_lo_u32 v7, v4, s28
	v_add_nc_u32_e32 v8, 1, v4
	s_delay_alu instid0(VALU_DEP_2) | instskip(NEXT) | instid1(VALU_DEP_1)
	v_sub_nc_u32_e32 v7, v5, v7
	v_subrev_nc_u32_e32 v9, s28, v7
	v_cmp_le_u32_e32 vcc_lo, s28, v7
	s_wait_alu 0xfffd
	s_delay_alu instid0(VALU_DEP_2) | instskip(NEXT) | instid1(VALU_DEP_1)
	v_dual_cndmask_b32 v7, v7, v9 :: v_dual_cndmask_b32 v4, v4, v8
	v_cmp_le_u32_e32 vcc_lo, s28, v7
	s_delay_alu instid0(VALU_DEP_2) | instskip(SKIP_1) | instid1(VALU_DEP_1)
	v_add_nc_u32_e32 v8, 1, v4
	s_wait_alu 0xfffd
	v_cndmask_b32_e32 v86, v4, v8, vcc_lo
.LBB0_6:                                ;   in Loop: Header=BB0_2 Depth=1
	s_wait_alu 0xfffe
	s_or_b32 exec_lo, exec_lo, s2
	v_mul_lo_u32 v4, v87, s28
	s_delay_alu instid0(VALU_DEP_2)
	v_mul_lo_u32 v9, v86, s29
	s_load_b64 s[30:31], s[22:23], 0x0
	v_mad_co_u64_u32 v[7:8], null, v86, s28, 0
	s_load_b64 s[28:29], s[20:21], 0x0
	s_add_nc_u64 s[24:25], s[24:25], 1
	s_add_nc_u64 s[20:21], s[20:21], 8
	s_wait_alu 0xfffe
	v_cmp_ge_u64_e64 s2, s[24:25], s[6:7]
	s_add_nc_u64 s[22:23], s[22:23], 8
	s_add_nc_u64 s[26:27], s[26:27], 8
	v_add3_u32 v4, v8, v9, v4
	v_sub_co_u32 v5, vcc_lo, v5, v7
	s_wait_alu 0xfffd
	s_delay_alu instid0(VALU_DEP_2) | instskip(SKIP_2) | instid1(VALU_DEP_1)
	v_sub_co_ci_u32_e32 v4, vcc_lo, v6, v4, vcc_lo
	s_and_b32 vcc_lo, exec_lo, s2
	s_wait_kmcnt 0x0
	v_mul_lo_u32 v6, s30, v4
	v_mul_lo_u32 v7, s31, v5
	v_mad_co_u64_u32 v[1:2], null, s30, v5, v[1:2]
	v_mul_lo_u32 v4, s28, v4
	v_mul_lo_u32 v8, s29, v5
	v_mad_co_u64_u32 v[84:85], null, s28, v5, v[84:85]
	s_delay_alu instid0(VALU_DEP_4) | instskip(NEXT) | instid1(VALU_DEP_2)
	v_add3_u32 v2, v7, v2, v6
	v_add3_u32 v85, v8, v85, v4
	s_wait_alu 0xfffe
	s_cbranch_vccnz .LBB0_9
; %bb.7:                                ;   in Loop: Header=BB0_2 Depth=1
	v_dual_mov_b32 v5, v86 :: v_dual_mov_b32 v6, v87
	s_branch .LBB0_2
.LBB0_8:
	v_dual_mov_b32 v85, v2 :: v_dual_mov_b32 v84, v1
	s_delay_alu instid0(VALU_DEP_2)
	v_dual_mov_b32 v87, v6 :: v_dual_mov_b32 v86, v5
.LBB0_9:
	s_load_b64 s[2:3], s[0:1], 0x28
	v_mul_hi_u32 v3, 0x97b425f, v0
	s_lshl_b64 s[6:7], s[6:7], 3
                                        ; implicit-def: $vgpr114
                                        ; implicit-def: $vgpr115
                                        ; implicit-def: $vgpr116
                                        ; implicit-def: $vgpr117
                                        ; implicit-def: $vgpr118
	s_wait_kmcnt 0x0
	v_cmp_gt_u64_e64 s0, s[2:3], v[86:87]
	v_cmp_le_u64_e32 vcc_lo, s[2:3], v[86:87]
	s_wait_alu 0xfffe
	s_add_nc_u64 s[2:3], s[14:15], s[6:7]
	s_and_saveexec_b32 s1, vcc_lo
	s_wait_alu 0xfffe
	s_xor_b32 s1, exec_lo, s1
; %bb.10:
	v_mul_u32_u24_e32 v1, 27, v3
                                        ; implicit-def: $vgpr3
	s_delay_alu instid0(VALU_DEP_1) | instskip(NEXT) | instid1(VALU_DEP_1)
	v_sub_nc_u32_e32 v114, v0, v1
                                        ; implicit-def: $vgpr0
                                        ; implicit-def: $vgpr1_vgpr2
	v_add_nc_u32_e32 v115, 27, v114
	v_add_nc_u32_e32 v116, 54, v114
	;; [unrolled: 1-line block ×4, first 2 shown]
; %bb.11:
	s_wait_alu 0xfffe
	s_or_saveexec_b32 s1, s1
	s_load_b64 s[2:3], s[2:3], 0x0
                                        ; implicit-def: $vgpr14_vgpr15
                                        ; implicit-def: $vgpr6_vgpr7
                                        ; implicit-def: $vgpr10_vgpr11
                                        ; implicit-def: $vgpr26_vgpr27
                                        ; implicit-def: $vgpr22_vgpr23
                                        ; implicit-def: $vgpr30_vgpr31
                                        ; implicit-def: $vgpr38_vgpr39
                                        ; implicit-def: $vgpr66_vgpr67
                                        ; implicit-def: $vgpr42_vgpr43
                                        ; implicit-def: $vgpr70_vgpr71
                                        ; implicit-def: $vgpr74_vgpr75
                                        ; implicit-def: $vgpr50_vgpr51
                                        ; implicit-def: $vgpr62_vgpr63
                                        ; implicit-def: $vgpr58_vgpr59
                                        ; implicit-def: $vgpr54_vgpr55
                                        ; implicit-def: $vgpr46_vgpr47
                                        ; implicit-def: $vgpr34_vgpr35
                                        ; implicit-def: $vgpr18_vgpr19
	s_xor_b32 exec_lo, exec_lo, s1
	s_cbranch_execz .LBB0_15
; %bb.12:
	s_add_nc_u64 s[6:7], s[12:13], s[6:7]
	v_mul_u32_u24_e32 v3, 27, v3
	s_load_b64 s[6:7], s[6:7], 0x0
	v_lshlrev_b64_e32 v[1:2], 4, v[1:2]
                                        ; implicit-def: $vgpr60_vgpr61
	s_delay_alu instid0(VALU_DEP_2) | instskip(NEXT) | instid1(VALU_DEP_1)
	v_sub_nc_u32_e32 v114, v0, v3
	v_mad_co_u64_u32 v[3:4], null, s18, v114, 0
	v_add_nc_u32_e32 v15, 0x90, v114
	v_or_b32_e32 v16, 0x120, v114
	v_add_nc_u32_e32 v18, 0xab, v114
	v_add_nc_u32_e32 v38, 0x156, v114
	;; [unrolled: 1-line block ×4, first 2 shown]
	v_mov_b32_e32 v0, v4
	v_mad_co_u64_u32 v[5:6], null, s18, v15, 0
	v_add_nc_u32_e32 v115, 27, v114
	s_wait_kmcnt 0x0
	v_mul_lo_u32 v4, s7, v86
	v_mul_lo_u32 v17, s6, v87
	v_mad_co_u64_u32 v[11:12], null, s6, v86, 0
	v_mad_co_u64_u32 v[7:8], null, s18, v16, 0
	;; [unrolled: 1-line block ×3, first 2 shown]
	v_mov_b32_e32 v0, v6
	v_mad_co_u64_u32 v[9:10], null, s18, v115, 0
	v_add3_u32 v12, v12, v17, v4
	v_mov_b32_e32 v6, v8
	s_delay_alu instid0(VALU_DEP_4) | instskip(SKIP_3) | instid1(VALU_DEP_3)
	v_mad_co_u64_u32 v[14:15], null, s19, v15, v[0:1]
	v_dual_mov_b32 v4, v13 :: v_dual_add_nc_u32 v117, 0x51, v114
	v_dual_mov_b32 v8, v10 :: v_dual_add_nc_u32 v25, 0xc6, v114
	v_lshlrev_b64_e32 v[10:11], 4, v[11:12]
	v_lshlrev_b64_e32 v[3:4], 4, v[3:4]
	v_mad_co_u64_u32 v[20:21], null, s18, v18, 0
	s_delay_alu instid0(VALU_DEP_4) | instskip(NEXT) | instid1(VALU_DEP_4)
	v_mad_co_u64_u32 v[12:13], null, s19, v115, v[8:9]
	v_add_co_u32 v0, vcc_lo, s8, v10
	s_wait_alu 0xfffd
	v_add_co_ci_u32_e32 v10, vcc_lo, s9, v11, vcc_lo
	v_add_nc_u32_e32 v13, 0x13b, v114
	v_mad_co_u64_u32 v[15:16], null, s19, v16, v[6:7]
	v_mov_b32_e32 v6, v14
	v_add_co_u32 v0, vcc_lo, v0, v1
	s_wait_alu 0xfffd
	v_add_co_ci_u32_e32 v1, vcc_lo, v10, v2, vcc_lo
	s_delay_alu instid0(VALU_DEP_3) | instskip(NEXT) | instid1(VALU_DEP_3)
	v_lshlrev_b64_e32 v[5:6], 4, v[5:6]
	v_add_co_u32 v2, vcc_lo, v0, v3
	v_mov_b32_e32 v10, v12
	v_mad_co_u64_u32 v[32:33], null, s18, v38, 0
	v_mov_b32_e32 v8, v15
	s_wait_alu 0xfffd
	v_add_co_ci_u32_e32 v3, vcc_lo, v1, v4, vcc_lo
	v_add_co_u32 v4, vcc_lo, v0, v5
	s_wait_alu 0xfffd
	v_add_co_ci_u32_e32 v5, vcc_lo, v1, v6, vcc_lo
	v_lshlrev_b64_e32 v[6:7], 4, v[7:8]
	v_lshlrev_b64_e32 v[9:10], 4, v[9:10]
	v_mad_co_u64_u32 v[22:23], null, s18, v13, 0
	v_mad_co_u64_u32 v[36:37], null, s18, v117, 0
	v_mov_b32_e32 v8, v21
	v_add_co_u32 v6, vcc_lo, v0, v6
	s_wait_alu 0xfffd
	v_add_co_ci_u32_e32 v7, vcc_lo, v1, v7, vcc_lo
	s_delay_alu instid0(VALU_DEP_3)
	v_mad_co_u64_u32 v[11:12], null, s19, v18, v[8:9]
	v_mov_b32_e32 v8, v23
	v_add_co_u32 v9, vcc_lo, v0, v9
	s_wait_alu 0xfffd
	v_add_co_ci_u32_e32 v10, vcc_lo, v1, v10, vcc_lo
	v_mad_co_u64_u32 v[28:29], null, s18, v116, 0
	v_mov_b32_e32 v21, v11
	v_mad_co_u64_u32 v[23:24], null, s19, v13, v[8:9]
	s_clause 0x3
	global_load_b128 v[16:19], v[2:3], off
	global_load_b128 v[12:15], v[4:5], off
	;; [unrolled: 1-line block ×4, first 2 shown]
	v_mad_co_u64_u32 v[30:31], null, s18, v25, 0
	v_lshlrev_b64_e32 v[2:3], 4, v[20:21]
	v_mad_co_u64_u32 v[48:49], null, s18, v118, 0
	v_lshlrev_b64_e32 v[21:22], 4, v[22:23]
	v_dual_mov_b32 v20, v29 :: v_dual_add_nc_u32 v57, 0x18c, v114
	s_delay_alu instid0(VALU_DEP_4) | instskip(SKIP_2) | instid1(VALU_DEP_3)
	v_add_co_u32 v2, vcc_lo, v0, v2
	s_wait_alu 0xfffd
	v_add_co_ci_u32_e32 v3, vcc_lo, v1, v3, vcc_lo
	v_mad_co_u64_u32 v[23:24], null, s19, v116, v[20:21]
	v_mov_b32_e32 v20, v31
	v_add_co_u32 v21, vcc_lo, v0, v21
	v_mov_b32_e32 v31, v33
	s_wait_alu 0xfffd
	v_add_co_ci_u32_e32 v22, vcc_lo, v1, v22, vcc_lo
	s_delay_alu instid0(VALU_DEP_3)
	v_mad_co_u64_u32 v[34:35], null, s19, v25, v[20:21]
	v_mov_b32_e32 v29, v23
	s_clause 0x1
	global_load_b128 v[24:27], v[2:3], off
	global_load_b128 v[20:23], v[21:22], off
	v_add_nc_u32_e32 v42, 0xe1, v114
	v_add_nc_u32_e32 v46, 0x171, v114
	;; [unrolled: 1-line block ×3, first 2 shown]
	v_lshlrev_b64_e32 v[2:3], 4, v[28:29]
	v_mad_co_u64_u32 v[28:29], null, s19, v38, v[31:32]
	v_mov_b32_e32 v31, v34
	v_mov_b32_e32 v29, v37
	v_mad_co_u64_u32 v[40:41], null, s18, v42, 0
	v_add_co_u32 v2, vcc_lo, v0, v2
	s_delay_alu instid0(VALU_DEP_4) | instskip(SKIP_4) | instid1(VALU_DEP_4)
	v_lshlrev_b64_e32 v[30:31], 4, v[30:31]
	v_mov_b32_e32 v33, v28
	s_wait_alu 0xfffd
	v_add_co_ci_u32_e32 v3, vcc_lo, v1, v3, vcc_lo
	v_mad_co_u64_u32 v[50:51], null, s18, v56, 0
	v_mad_co_u64_u32 v[37:38], null, s19, v117, v[29:30]
	v_add_co_u32 v28, vcc_lo, v0, v30
	v_lshlrev_b64_e32 v[38:39], 4, v[32:33]
	s_wait_alu 0xfffd
	v_add_co_ci_u32_e32 v29, vcc_lo, v1, v31, vcc_lo
	s_clause 0x1
	global_load_b128 v[32:35], v[2:3], off
	global_load_b128 v[28:31], v[28:29], off
	v_add_co_u32 v2, vcc_lo, v0, v38
	v_mov_b32_e32 v38, v41
	s_wait_alu 0xfffd
	v_add_co_ci_u32_e32 v3, vcc_lo, v1, v39, vcc_lo
	v_lshlrev_b64_e32 v[36:37], 4, v[36:37]
	s_mov_b32 s6, exec_lo
	v_mad_co_u64_u32 v[38:39], null, s19, v42, v[38:39]
	v_mad_co_u64_u32 v[42:43], null, s18, v46, 0
	s_delay_alu instid0(VALU_DEP_3) | instskip(SKIP_3) | instid1(VALU_DEP_4)
	v_add_co_u32 v44, vcc_lo, v0, v36
	s_wait_alu 0xfffd
	v_add_co_ci_u32_e32 v45, vcc_lo, v1, v37, vcc_lo
	v_mov_b32_e32 v37, v49
	v_dual_mov_b32 v41, v38 :: v_dual_mov_b32 v36, v43
	s_delay_alu instid0(VALU_DEP_1) | instskip(NEXT) | instid1(VALU_DEP_2)
	v_lshlrev_b64_e32 v[40:41], 4, v[40:41]
	v_mad_co_u64_u32 v[52:53], null, s19, v46, v[36:37]
	v_mad_co_u64_u32 v[53:54], null, s19, v118, v[37:38]
	;; [unrolled: 1-line block ×3, first 2 shown]
	s_clause 0x1
	global_load_b128 v[36:39], v[2:3], off
	global_load_b128 v[44:47], v[44:45], off
	v_dual_mov_b32 v2, v51 :: v_dual_mov_b32 v43, v52
	v_add_co_u32 v40, vcc_lo, v0, v40
	v_mov_b32_e32 v49, v53
	s_delay_alu instid0(VALU_DEP_3)
	v_mad_co_u64_u32 v[2:3], null, s19, v56, v[2:3]
	v_mov_b32_e32 v3, v55
	v_lshlrev_b64_e32 v[42:43], 4, v[42:43]
	s_wait_alu 0xfffd
	v_add_co_ci_u32_e32 v41, vcc_lo, v1, v41, vcc_lo
	v_lshlrev_b64_e32 v[48:49], 4, v[48:49]
	v_mov_b32_e32 v51, v2
	s_delay_alu instid0(VALU_DEP_4)
	v_add_co_u32 v2, vcc_lo, v0, v42
	s_wait_loadcnt 0x7
	v_mad_co_u64_u32 v[52:53], null, s19, v57, v[3:4]
	s_wait_alu 0xfffd
	v_add_co_ci_u32_e32 v3, vcc_lo, v1, v43, vcc_lo
	v_lshlrev_b64_e32 v[42:43], 4, v[50:51]
	v_add_co_u32 v48, vcc_lo, v0, v48
	s_wait_alu 0xfffd
	v_add_co_ci_u32_e32 v49, vcc_lo, v1, v49, vcc_lo
	v_mov_b32_e32 v55, v52
	s_delay_alu instid0(VALU_DEP_4) | instskip(SKIP_2) | instid1(VALU_DEP_3)
	v_add_co_u32 v52, vcc_lo, v0, v42
	s_wait_alu 0xfffd
	v_add_co_ci_u32_e32 v53, vcc_lo, v1, v43, vcc_lo
	v_lshlrev_b64_e32 v[50:51], 4, v[54:55]
                                        ; implicit-def: $vgpr56_vgpr57
	s_delay_alu instid0(VALU_DEP_1) | instskip(SKIP_1) | instid1(VALU_DEP_2)
	v_add_co_u32 v50, vcc_lo, v0, v50
	s_wait_alu 0xfffd
	v_add_co_ci_u32_e32 v51, vcc_lo, v1, v51, vcc_lo
	s_clause 0x4
	global_load_b128 v[64:67], v[40:41], off
	global_load_b128 v[40:43], v[2:3], off
	;; [unrolled: 1-line block ×5, first 2 shown]
                                        ; implicit-def: $vgpr52_vgpr53
	v_cmpx_gt_u32_e32 9, v114
	s_cbranch_execz .LBB0_14
; %bb.13:
	v_add_nc_u32_e32 v56, 0x87, v114
	v_add_nc_u32_e32 v59, 0x1a7, v114
	s_delay_alu instid0(VALU_DEP_2) | instskip(NEXT) | instid1(VALU_DEP_2)
	v_mad_co_u64_u32 v[2:3], null, s18, v56, 0
	v_mad_co_u64_u32 v[54:55], null, s18, v59, 0
	s_delay_alu instid0(VALU_DEP_2) | instskip(NEXT) | instid1(VALU_DEP_1)
	v_mad_co_u64_u32 v[56:57], null, s19, v56, v[3:4]
	v_dual_mov_b32 v3, v56 :: v_dual_add_nc_u32 v58, 0x117, v114
	s_delay_alu instid0(VALU_DEP_1) | instskip(NEXT) | instid1(VALU_DEP_2)
	v_mad_co_u64_u32 v[52:53], null, s18, v58, 0
	v_lshlrev_b64_e32 v[2:3], 4, v[2:3]
	s_delay_alu instid0(VALU_DEP_2) | instskip(SKIP_1) | instid1(VALU_DEP_3)
	v_mad_co_u64_u32 v[57:58], null, s19, v58, v[53:54]
	v_mad_co_u64_u32 v[58:59], null, s19, v59, v[55:56]
	v_add_co_u32 v2, vcc_lo, v0, v2
	s_wait_alu 0xfffd
	s_delay_alu instid0(VALU_DEP_4) | instskip(NEXT) | instid1(VALU_DEP_4)
	v_add_co_ci_u32_e32 v3, vcc_lo, v1, v3, vcc_lo
	v_mov_b32_e32 v53, v57
	s_delay_alu instid0(VALU_DEP_4) | instskip(NEXT) | instid1(VALU_DEP_2)
	v_mov_b32_e32 v55, v58
	v_lshlrev_b64_e32 v[52:53], 4, v[52:53]
	s_delay_alu instid0(VALU_DEP_2) | instskip(NEXT) | instid1(VALU_DEP_2)
	v_lshlrev_b64_e32 v[54:55], 4, v[54:55]
	v_add_co_u32 v56, vcc_lo, v0, v52
	s_wait_alu 0xfffd
	s_delay_alu instid0(VALU_DEP_3) | instskip(NEXT) | instid1(VALU_DEP_3)
	v_add_co_ci_u32_e32 v57, vcc_lo, v1, v53, vcc_lo
	v_add_co_u32 v0, vcc_lo, v0, v54
	s_wait_alu 0xfffd
	v_add_co_ci_u32_e32 v1, vcc_lo, v1, v55, vcc_lo
	s_clause 0x2
	global_load_b128 v[52:55], v[2:3], off
	global_load_b128 v[56:59], v[56:57], off
	;; [unrolled: 1-line block ×3, first 2 shown]
.LBB0_14:
	s_wait_alu 0xfffe
	s_or_b32 exec_lo, exec_lo, s6
.LBB0_15:
	s_delay_alu instid0(SALU_CYCLE_1)
	s_or_b32 exec_lo, exec_lo, s1
	v_add_f64_e32 v[0:1], v[12:13], v[4:5]
	s_wait_loadcnt 0x9
	v_add_f64_e32 v[2:3], v[24:25], v[20:21]
	s_wait_loadcnt 0x3
	;; [unrolled: 2-line block ×3, first 2 shown]
	v_add_f64_e32 v[81:82], v[72:73], v[48:49]
	v_add_f64_e32 v[88:89], v[60:61], v[56:57]
	;; [unrolled: 1-line block ×4, first 2 shown]
	v_add_f64_e64 v[92:93], v[14:15], -v[6:7]
	v_add_f64_e32 v[98:99], v[64:65], v[44:45]
	v_add_f64_e32 v[100:101], v[68:69], v[72:73]
	;; [unrolled: 1-line block ×4, first 2 shown]
	s_mov_b32 s6, 0xe8584caa
	s_mov_b32 s7, 0xbfebb67a
	s_mov_b32 s9, 0x3febb67a
	s_wait_alu 0xfffe
	s_mov_b32 s8, s6
	v_fma_f64 v[0:1], v[0:1], -0.5, v[16:17]
	v_add_f64_e64 v[16:17], v[26:27], -v[22:23]
	v_fma_f64 v[2:3], v[2:3], -0.5, v[8:9]
	v_fma_f64 v[44:45], v[79:80], -0.5, v[44:45]
	v_add_f64_e64 v[79:80], v[74:75], -v[50:51]
	v_fma_f64 v[68:69], v[81:82], -0.5, v[68:69]
	v_add_f64_e64 v[81:82], v[58:59], -v[62:63]
	;; [unrolled: 2-line block ×4, first 2 shown]
	v_add_f64_e32 v[90:91], v[4:5], v[90:91]
	v_add_f64_e32 v[94:95], v[94:95], v[20:21]
	;; [unrolled: 1-line block ×5, first 2 shown]
	v_fma_f64 v[102:103], v[92:93], s[6:7], v[0:1]
	s_wait_alu 0xfffe
	v_fma_f64 v[92:93], v[92:93], s[8:9], v[0:1]
	v_fma_f64 v[104:105], v[16:17], s[6:7], v[2:3]
	;; [unrolled: 1-line block ×3, first 2 shown]
	v_and_b32_e32 v0, 1, v76
	v_fma_f64 v[121:122], v[79:80], s[6:7], v[68:69]
	v_fma_f64 v[79:80], v[79:80], s[8:9], v[68:69]
	;; [unrolled: 1-line block ×8, first 2 shown]
	v_cmp_eq_u32_e32 vcc_lo, 1, v0
	v_mad_u32_u24 v17, v114, 24, 0
	v_mad_i32_i24 v0, v115, 24, 0
	v_mad_i32_i24 v1, v116, 24, 0
	v_mad_i32_i24 v8, v117, 24, 0
	s_wait_alu 0xfffd
	v_cndmask_b32_e64 v16, 0, 0x1b0, vcc_lo
	v_mad_i32_i24 v9, v118, 24, 0
	v_cmp_gt_u32_e32 vcc_lo, 9, v114
	s_delay_alu instid0(VALU_DEP_3) | instskip(NEXT) | instid1(VALU_DEP_1)
	v_lshlrev_b32_e32 v120, 3, v16
	v_add_nc_u32_e32 v78, v17, v120
	v_add_nc_u32_e32 v77, v0, v120
	;; [unrolled: 1-line block ×5, first 2 shown]
	ds_store_2addr_b64 v78, v[90:91], v[102:103] offset1:1
	ds_store_b64 v78, v[92:93] offset:16
	ds_store_2addr_b64 v77, v[94:95], v[104:105] offset1:1
	ds_store_b64 v77, v[106:107] offset:16
	ds_store_2addr_b64 v76, v[96:97], v[108:109] offset1:1
	ds_store_b64 v76, v[32:33] offset:16
	ds_store_2addr_b64 v45, v[98:99], v[110:111] offset1:1
	ds_store_b64 v45, v[112:113] offset:16
	ds_store_2addr_b64 v44, v[100:101], v[121:122] offset1:1
	ds_store_b64 v44, v[79:80] offset:16
	s_and_saveexec_b32 s1, vcc_lo
	s_cbranch_execz .LBB0_17
; %bb.16:
	v_add_f64_e32 v[32:33], v[56:57], v[52:53]
	v_lshl_add_u32 v16, v16, 3, v17
	s_delay_alu instid0(VALU_DEP_1) | instskip(NEXT) | instid1(VALU_DEP_3)
	v_add_nc_u32_e32 v17, 0xca8, v16
	v_add_f64_e32 v[32:33], v[60:61], v[32:33]
	ds_store_2addr_b64 v17, v[32:33], v[2:3] offset1:1
	ds_store_b64 v16, v[68:69] offset:3256
.LBB0_17:
	s_wait_alu 0xfffe
	s_or_b32 exec_lo, exec_lo, s1
	v_add_f64_e32 v[16:17], v[14:15], v[6:7]
	v_add_f64_e32 v[32:33], v[26:27], v[22:23]
	;; [unrolled: 1-line block ×7, first 2 shown]
	v_add_f64_e64 v[4:5], v[12:13], -v[4:5]
	v_add_f64_e32 v[12:13], v[10:11], v[26:27]
	v_add_f64_e32 v[26:27], v[30:31], v[34:35]
	;; [unrolled: 1-line block ×4, first 2 shown]
	global_wb scope:SCOPE_SE
	s_wait_dscnt 0x0
	s_wait_kmcnt 0x0
	s_barrier_signal -1
	s_barrier_wait -1
	global_inv scope:SCOPE_SE
	v_add_nc_u32_e32 v119, 0x87, v114
	v_fma_f64 v[16:17], v[16:17], -0.5, v[18:19]
	v_add_f64_e64 v[18:19], v[24:25], -v[20:21]
	v_fma_f64 v[10:11], v[32:33], -0.5, v[10:11]
	v_add_f64_e64 v[20:21], v[28:29], -v[36:37]
	v_add_f64_e64 v[28:29], v[64:65], -v[40:41]
	v_fma_f64 v[32:33], v[79:80], -0.5, v[46:47]
	v_add_f64_e64 v[40:41], v[56:57], -v[60:61]
	v_fma_f64 v[46:47], v[88:89], -0.5, v[54:55]
	v_fma_f64 v[24:25], v[52:53], -0.5, v[34:35]
	v_add_f64_e64 v[34:35], v[72:73], -v[48:49]
	v_fma_f64 v[36:37], v[81:82], -0.5, v[70:71]
	v_lshlrev_b32_e32 v48, 4, v115
	v_lshlrev_b32_e32 v49, 3, v114
	;; [unrolled: 1-line block ×5, first 2 shown]
	v_sub_nc_u32_e32 v0, v0, v48
	v_add3_u32 v121, 0, v120, v49
	v_sub_nc_u32_e32 v1, v1, v52
	v_sub_nc_u32_e32 v8, v8, v53
	v_add_nc_u32_e32 v64, 0, v49
	v_add_f64_e32 v[52:53], v[6:7], v[14:15]
	v_sub_nc_u32_e32 v9, v9, v56
	v_add_f64_e32 v[56:57], v[12:13], v[22:23]
	v_add_f64_e32 v[60:61], v[38:39], v[26:27]
	;; [unrolled: 1-line block ×3, first 2 shown]
	v_add_nc_u32_e32 v122, v64, v120
	v_add_f64_e32 v[50:51], v[66:67], v[50:51]
	v_add_nc_u32_e32 v124, v0, v120
	v_add_nc_u32_e32 v123, v9, v120
	;; [unrolled: 1-line block ×6, first 2 shown]
	v_fma_f64 v[70:71], v[4:5], s[8:9], v[16:17]
	v_fma_f64 v[72:73], v[4:5], s[6:7], v[16:17]
	v_fma_f64 v[74:75], v[18:19], s[8:9], v[10:11]
	v_fma_f64 v[79:80], v[18:19], s[6:7], v[10:11]
	v_fma_f64 v[90:91], v[28:29], s[8:9], v[32:33]
	v_fma_f64 v[28:29], v[28:29], s[6:7], v[32:33]
	v_fma_f64 v[48:49], v[40:41], s[6:7], v[46:47]
	v_fma_f64 v[6:7], v[40:41], s[8:9], v[46:47]
	v_fma_f64 v[81:82], v[20:21], s[8:9], v[24:25]
	v_fma_f64 v[88:89], v[20:21], s[6:7], v[24:25]
	v_fma_f64 v[92:93], v[34:35], s[8:9], v[36:37]
	v_fma_f64 v[34:35], v[34:35], s[6:7], v[36:37]
	ds_load_b64 v[0:1], v121
	ds_load_b64 v[42:43], v124
	ds_load_b64 v[40:41], v125
	ds_load_b64 v[38:39], v126
	ds_load_2addr_b64 v[24:27], v122 offset0:135 offset1:162
	ds_load_2addr_b64 v[8:11], v122 offset0:189 offset1:216
	ds_load_b64 v[32:33], v123
	ds_load_b64 v[4:5], v122 offset:3240
	ds_load_2addr_b64 v[20:23], v64 offset0:115 offset1:142
	ds_load_2addr_b64 v[16:19], v66 offset0:41 offset1:68
	;; [unrolled: 1-line block ×3, first 2 shown]
	global_wb scope:SCOPE_SE
	s_wait_dscnt 0x0
	s_barrier_signal -1
	s_barrier_wait -1
	global_inv scope:SCOPE_SE
	ds_store_2addr_b64 v78, v[52:53], v[70:71] offset1:1
	ds_store_b64 v78, v[72:73] offset:16
	ds_store_2addr_b64 v77, v[56:57], v[74:75] offset1:1
	ds_store_b64 v77, v[79:80] offset:16
	;; [unrolled: 2-line block ×5, first 2 shown]
	s_and_saveexec_b32 s1, vcc_lo
	s_cbranch_execz .LBB0_19
; %bb.18:
	v_add_f64_e32 v[28:29], v[58:59], v[54:55]
	v_mul_u32_u24_e32 v30, 24, v119
	s_delay_alu instid0(VALU_DEP_1) | instskip(NEXT) | instid1(VALU_DEP_3)
	v_add3_u32 v30, 0, v30, v120
	v_add_f64_e32 v[28:29], v[62:63], v[28:29]
	ds_store_2addr_b64 v30, v[28:29], v[6:7] offset1:1
	ds_store_b64 v30, v[48:49] offset:16
.LBB0_19:
	s_wait_alu 0xfffe
	s_or_b32 exec_lo, exec_lo, s1
	v_and_b32_e32 v28, 0xff, v114
	global_wb scope:SCOPE_SE
	s_wait_dscnt 0x0
	s_barrier_signal -1
	s_barrier_wait -1
	global_inv scope:SCOPE_SE
	v_mul_lo_u16 v28, 0xab, v28
	s_mov_b32 s18, 0x667f3bcd
	s_mov_b32 s19, 0x3fe6a09e
	;; [unrolled: 1-line block ×3, first 2 shown]
	s_wait_alu 0xfffe
	s_mov_b32 s20, s18
	v_lshrrev_b16 v62, 9, v28
	s_mov_b32 s6, 0xcf328d46
	s_mov_b32 s7, 0xbfed906b
	s_mov_b32 s15, 0x3fed906b
	s_wait_alu 0xfffe
	s_mov_b32 s14, s6
	v_mul_lo_u16 v28, v62, 3
	s_mov_b32 s12, 0xa6aea964
	s_mov_b32 s13, 0x3fd87de2
	;; [unrolled: 1-line block ×4, first 2 shown]
	v_sub_nc_u16 v28, v114, v28
	v_and_b32_e32 v62, 0xffff, v62
	s_delay_alu instid0(VALU_DEP_2) | instskip(NEXT) | instid1(VALU_DEP_2)
	v_and_b32_e32 v63, 0xff, v28
	v_mul_u32_u24_e32 v62, 48, v62
	s_delay_alu instid0(VALU_DEP_2) | instskip(NEXT) | instid1(VALU_DEP_2)
	v_mul_u32_u24_e32 v28, 15, v63
	v_or_b32_e32 v62, v62, v63
	s_delay_alu instid0(VALU_DEP_2) | instskip(NEXT) | instid1(VALU_DEP_2)
	v_lshlrev_b32_e32 v34, 4, v28
	v_lshlrev_b32_e32 v62, 3, v62
	s_clause 0xe
	global_load_b128 v[50:53], v34, s[4:5] offset:64
	global_load_b128 v[54:57], v34, s[4:5] offset:80
	;; [unrolled: 1-line block ×6, first 2 shown]
	global_load_b128 v[88:91], v34, s[4:5]
	global_load_b128 v[92:95], v34, s[4:5] offset:16
	global_load_b128 v[96:99], v34, s[4:5] offset:32
	;; [unrolled: 1-line block ×8, first 2 shown]
	ds_load_2addr_b64 v[135:138], v122 offset0:135 offset1:162
	ds_load_2addr_b64 v[139:142], v64 offset0:115 offset1:142
	ds_load_b64 v[112:113], v124
	ds_load_b64 v[151:152], v125
	;; [unrolled: 1-line block ×3, first 2 shown]
	ds_load_2addr_b64 v[34:37], v122 offset0:189 offset1:216
	ds_load_2addr_b64 v[143:146], v66 offset0:41 offset1:68
	;; [unrolled: 1-line block ×3, first 2 shown]
	ds_load_b64 v[44:45], v121
	s_wait_loadcnt_dscnt 0xe08
	v_mul_f64_e32 v[46:47], v[135:136], v[52:53]
	v_mul_f64_e32 v[52:53], v[24:25], v[52:53]
	s_wait_loadcnt 0xd
	v_mul_f64_e32 v[82:83], v[137:138], v[56:57]
	v_mul_f64_e32 v[56:57], v[26:27], v[56:57]
	s_wait_loadcnt 0xc
	v_mul_f64_e32 v[155:156], v[12:13], v[60:61]
	s_wait_loadcnt 0xb
	v_mul_f64_e32 v[157:158], v[14:15], v[72:73]
	s_wait_loadcnt_dscnt 0x907
	v_mul_f64_e32 v[161:162], v[139:140], v[80:81]
	s_wait_loadcnt_dscnt 0x705
	;; [unrolled: 2-line block ×3, first 2 shown]
	v_mul_f64_e32 v[167:168], v[153:154], v[98:99]
	s_wait_loadcnt 0x5
	v_mul_f64_e32 v[169:170], v[32:33], v[102:103]
	v_mul_f64_e32 v[159:160], v[141:142], v[76:77]
	s_wait_loadcnt 0x3
	v_mul_f64_e32 v[173:174], v[4:5], v[106:107]
	v_mul_f64_e32 v[163:164], v[112:113], v[90:91]
	s_wait_dscnt 0x3
	v_mul_f64_e32 v[171:172], v[36:37], v[30:31]
	s_wait_dscnt 0x1
	v_mul_f64_e32 v[60:61], v[147:148], v[60:61]
	v_mul_f64_e32 v[72:73], v[149:150], v[72:73]
	;; [unrolled: 1-line block ×5, first 2 shown]
	v_fma_f64 v[24:25], v[24:25], v[50:51], v[46:47]
	v_fma_f64 v[46:47], v[135:136], v[50:51], -v[52:53]
	s_wait_loadcnt 0x2
	v_mul_f64_e32 v[50:51], v[18:19], v[110:111]
	v_fma_f64 v[26:27], v[26:27], v[54:55], v[82:83]
	s_wait_loadcnt 0x1
	v_mul_f64_e32 v[82:83], v[143:144], v[129:130]
	s_wait_loadcnt 0x0
	v_mul_f64_e32 v[135:136], v[8:9], v[133:134]
	ds_load_b64 v[52:53], v123
	v_fma_f64 v[54:55], v[137:138], v[54:55], -v[56:57]
	ds_load_b64 v[56:57], v122 offset:3240
	v_fma_f64 v[137:138], v[147:148], v[58:59], -v[155:156]
	v_fma_f64 v[147:148], v[149:150], v[70:71], -v[157:158]
	v_fma_f64 v[149:150], v[20:21], v[78:79], v[161:162]
	v_mul_f64_e32 v[20:21], v[20:21], v[80:81]
	v_mul_f64_e32 v[80:81], v[145:146], v[110:111]
	v_fma_f64 v[110:111], v[40:41], v[92:93], v[165:166]
	v_mul_f64_e32 v[40:41], v[38:39], v[98:99]
	v_fma_f64 v[98:99], v[38:39], v[96:97], v[167:168]
	;; [unrolled: 2-line block ×3, first 2 shown]
	v_fma_f64 v[42:43], v[42:43], v[88:89], v[163:164]
	v_fma_f64 v[74:75], v[141:142], v[74:75], -v[76:77]
	v_fma_f64 v[12:13], v[12:13], v[58:59], v[60:61]
	v_fma_f64 v[14:15], v[14:15], v[70:71], v[72:73]
	global_wb scope:SCOPE_SE
	s_wait_dscnt 0x0
	s_barrier_signal -1
	s_barrier_wait -1
	v_mul_f64_e32 v[102:103], v[52:53], v[102:103]
	v_fma_f64 v[38:39], v[52:53], v[100:101], -v[169:170]
	v_mul_f64_e32 v[52:53], v[16:17], v[129:130]
	v_fma_f64 v[129:130], v[56:57], v[104:105], -v[173:174]
	v_mul_f64_e32 v[56:57], v[56:57], v[106:107]
	v_fma_f64 v[106:107], v[10:11], v[28:29], v[171:172]
	global_inv scope:SCOPE_SE
	v_fma_f64 v[50:51], v[145:146], v[108:109], -v[50:51]
	v_fma_f64 v[16:17], v[16:17], v[127:128], v[82:83]
	v_fma_f64 v[34:35], v[34:35], v[131:132], -v[135:136]
	v_fma_f64 v[82:83], v[112:113], v[88:89], -v[90:91]
	v_add_f64_e64 v[72:73], v[46:47], -v[137:138]
	v_fma_f64 v[18:19], v[18:19], v[108:109], v[80:81]
	v_fma_f64 v[80:81], v[151:152], v[92:93], -v[94:95]
	v_fma_f64 v[58:59], v[153:154], v[96:97], -v[40:41]
	v_fma_f64 v[60:61], v[8:9], v[131:132], v[133:134]
	v_fma_f64 v[8:9], v[139:140], v[78:79], -v[20:21]
	v_add_f64_e64 v[22:23], v[110:111], -v[22:23]
	v_add_f64_e64 v[70:71], v[42:43], -v[149:150]
	;; [unrolled: 1-line block ×4, first 2 shown]
	v_fma_f64 v[32:33], v[32:33], v[100:101], v[102:103]
	v_fma_f64 v[20:21], v[143:144], v[127:128], -v[52:53]
	v_fma_f64 v[52:53], v[4:5], v[104:105], v[56:57]
	v_add_f64_e64 v[56:57], v[0:1], -v[106:107]
	v_add_f64_e64 v[4:5], v[38:39], -v[50:51]
	;; [unrolled: 1-line block ×5, first 2 shown]
	v_fma_f64 v[46:47], v[46:47], 2.0, -v[72:73]
	v_add_f64_e64 v[78:79], v[82:83], -v[8:9]
	v_fma_f64 v[96:97], v[110:111], 2.0, -v[22:23]
	v_add_f64_e32 v[92:93], v[70:71], v[72:73]
	v_fma_f64 v[42:43], v[42:43], 2.0, -v[70:71]
	v_fma_f64 v[24:25], v[24:25], 2.0, -v[12:13]
	;; [unrolled: 1-line block ×3, first 2 shown]
	v_add_f64_e64 v[40:41], v[32:33], -v[18:19]
	v_add_f64_e64 v[18:19], v[80:81], -v[74:75]
	;; [unrolled: 1-line block ×4, first 2 shown]
	v_fma_f64 v[0:1], v[0:1], 2.0, -v[56:57]
	v_add_f64_e32 v[88:89], v[56:57], v[4:5]
	v_add_f64_e32 v[90:91], v[22:23], v[50:51]
	v_fma_f64 v[50:51], v[54:55], 2.0, -v[50:51]
	v_add_f64_e32 v[94:95], v[16:17], v[76:77]
	v_fma_f64 v[34:35], v[34:35], 2.0, -v[76:77]
	v_fma_f64 v[54:55], v[98:99], 2.0, -v[16:17]
	v_add_f64_e64 v[12:13], v[78:79], -v[12:13]
	v_fma_f64 v[70:71], v[70:71], 2.0, -v[92:93]
	v_add_f64_e64 v[24:25], v[42:43], -v[24:25]
	v_add_f64_e64 v[74:75], v[96:97], -v[26:27]
	v_fma_f64 v[32:33], v[32:33], 2.0, -v[40:41]
	v_fma_f64 v[8:9], v[80:81], 2.0, -v[18:19]
	;; [unrolled: 1-line block ×3, first 2 shown]
	v_add_f64_e64 v[14:15], v[18:19], -v[14:15]
	v_fma_f64 v[60:61], v[60:61], 2.0, -v[52:53]
	v_add_f64_e64 v[52:53], v[20:21], -v[52:53]
	v_fma_f64 v[98:99], v[56:57], 2.0, -v[88:89]
	v_fma_f64 v[22:23], v[22:23], 2.0, -v[90:91]
	;; [unrolled: 1-line block ×4, first 2 shown]
	v_fma_f64 v[72:73], v[94:95], s[18:19], v[92:93]
	v_fma_f64 v[26:27], v[78:79], 2.0, -v[12:13]
	v_fma_f64 v[102:103], v[42:43], 2.0, -v[24:25]
	;; [unrolled: 1-line block ×3, first 2 shown]
	v_add_f64_e64 v[32:33], v[0:1], -v[32:33]
	v_add_f64_e64 v[58:59], v[8:9], -v[50:51]
	v_fma_f64 v[50:51], v[90:91], s[18:19], v[88:89]
	v_add_f64_e64 v[34:35], v[80:81], -v[34:35]
	v_add_f64_e64 v[60:61], v[54:55], -v[60:61]
	v_fma_f64 v[18:19], v[18:19], 2.0, -v[14:15]
	v_fma_f64 v[20:21], v[20:21], 2.0, -v[52:53]
	v_fma_f64 v[100:101], v[52:53], s[18:19], v[12:13]
	v_fma_f64 v[76:77], v[22:23], s[20:21], v[98:99]
	v_add_f64_e64 v[82:83], v[56:57], -v[46:47]
	v_fma_f64 v[78:79], v[16:17], s[20:21], v[70:71]
	v_fma_f64 v[46:47], v[52:53], s[18:19], v[72:73]
	v_fma_f64 v[0:1], v[0:1], 2.0, -v[32:33]
	v_add_f64_e32 v[104:105], v[32:33], v[58:59]
	v_fma_f64 v[106:107], v[14:15], s[18:19], v[50:51]
	v_add_f64_e32 v[108:109], v[24:25], v[34:35]
	v_fma_f64 v[50:51], v[54:55], 2.0, -v[60:61]
	v_fma_f64 v[52:53], v[20:21], s[20:21], v[26:27]
	v_fma_f64 v[72:73], v[18:19], s[18:19], v[76:77]
	v_fma_f64 v[56:57], v[56:57], 2.0, -v[82:83]
	v_fma_f64 v[42:43], v[20:21], s[18:19], v[78:79]
	v_fma_f64 v[20:21], v[80:81], 2.0, -v[34:35]
	v_add_f64_e64 v[34:35], v[82:83], -v[60:61]
	v_fma_f64 v[60:61], v[94:95], s[20:21], v[100:101]
	v_fma_f64 v[54:55], v[92:93], 2.0, -v[46:47]
	v_add_f64_e64 v[94:95], v[0:1], -v[96:97]
	v_fma_f64 v[32:33], v[32:33], 2.0, -v[104:105]
	v_fma_f64 v[88:89], v[88:89], 2.0, -v[106:107]
	;; [unrolled: 1-line block ×3, first 2 shown]
	v_add_f64_e64 v[50:51], v[102:103], -v[50:51]
	v_fma_f64 v[76:77], v[16:17], s[20:21], v[52:53]
	v_fma_f64 v[16:17], v[98:99], 2.0, -v[72:73]
	v_fma_f64 v[52:53], v[70:71], 2.0, -v[42:43]
	v_fma_f64 v[70:71], v[46:47], s[14:15], v[106:107]
	v_add_f64_e64 v[78:79], v[56:57], -v[20:21]
	v_fma_f64 v[80:81], v[12:13], 2.0, -v[60:61]
	v_fma_f64 v[12:13], v[108:109], s[18:19], v[104:105]
	v_fma_f64 v[20:21], v[82:83], 2.0, -v[34:35]
	v_fma_f64 v[92:93], v[0:1], 2.0, -v[94:95]
	s_wait_alu 0xfffe
	v_fma_f64 v[100:101], v[54:55], s[8:9], v[88:89]
	v_fma_f64 v[98:99], v[24:25], s[20:21], v[32:33]
	v_fma_f64 v[96:97], v[102:103], 2.0, -v[50:51]
	v_fma_f64 v[102:103], v[42:43], s[12:13], v[72:73]
	v_fma_f64 v[82:83], v[26:27], 2.0, -v[76:77]
	v_fma_f64 v[26:27], v[52:53], s[6:7], v[16:17]
	v_fma_f64 v[0:1], v[60:61], s[12:13], v[70:71]
	v_add_f64_e32 v[70:71], v[94:95], v[78:79]
	v_fma_f64 v[12:13], v[34:35], s[18:19], v[12:13]
	v_fma_f64 v[112:113], v[80:81], s[14:15], v[100:101]
	;; [unrolled: 1-line block ×3, first 2 shown]
	v_add_f64_e64 v[129:130], v[92:93], -v[96:97]
	v_fma_f64 v[127:128], v[76:77], s[14:15], v[102:103]
	v_mul_f64_e32 v[98:99], s[18:19], v[90:91]
	v_mul_f64_e32 v[100:101], s[18:19], v[14:15]
	;; [unrolled: 1-line block ×5, first 2 shown]
	v_fma_f64 v[26:27], v[82:83], s[12:13], v[26:27]
	v_fma_f64 v[133:134], v[94:95], 2.0, -v[70:71]
	v_mul_f64_e32 v[94:95], s[18:19], v[34:35]
	v_fma_f64 v[131:132], v[104:105], 2.0, -v[12:13]
	v_fma_f64 v[105:106], v[106:107], 2.0, -v[0:1]
	v_add3_u32 v104, 0, v62, v120
	v_fma_f64 v[135:136], v[88:89], 2.0, -v[112:113]
	v_fma_f64 v[32:33], v[32:33], 2.0, -v[110:111]
	;; [unrolled: 1-line block ×4, first 2 shown]
	v_mul_f64_e32 v[88:89], s[18:19], v[24:25]
	v_mul_f64_e32 v[92:93], s[18:19], v[20:21]
	v_fma_f64 v[16:17], v[16:17], 2.0, -v[26:27]
	ds_store_2addr_b64 v104, v[12:13], v[0:1] offset0:42 offset1:45
	ds_store_2addr_b64 v104, v[131:132], v[105:106] offset0:18 offset1:21
	;; [unrolled: 1-line block ×7, first 2 shown]
	ds_store_2addr_b64 v104, v[137:138], v[16:17] offset1:3
	global_wb scope:SCOPE_SE
	s_wait_dscnt 0x0
	s_barrier_signal -1
	s_barrier_wait -1
	global_inv scope:SCOPE_SE
	ds_load_2addr_b64 v[16:19], v122 offset0:144 offset1:171
	ds_load_2addr_b64 v[12:15], v64 offset0:124 offset1:160
	;; [unrolled: 1-line block ×4, first 2 shown]
	ds_load_b64 v[72:73], v121
	ds_load_b64 v[62:63], v124
	;; [unrolled: 1-line block ×4, first 2 shown]
	ds_load_2addr_b64 v[32:35], v66 offset0:113 offset1:140
	ds_load_b64 v[66:67], v123
	s_and_saveexec_b32 s1, vcc_lo
	s_cbranch_execz .LBB0_21
; %bb.20:
	v_add_nc_u32_e32 v0, 0x400, v122
	ds_load_2addr_b64 v[0:3], v0 offset0:7 offset1:151
	ds_load_b64 v[68:69], v122 offset:3384
.LBB0_21:
	s_wait_alu 0xfffe
	s_or_b32 exec_lo, exec_lo, s1
	v_mul_f64_e32 v[10:11], v[10:11], v[30:31]
	v_fma_f64 v[4:5], v[38:39], 2.0, -v[4:5]
	v_fma_f64 v[8:9], v[8:9], 2.0, -v[58:59]
	;; [unrolled: 1-line block ×3, first 2 shown]
	global_wb scope:SCOPE_SE
	s_wait_dscnt 0x0
	s_barrier_signal -1
	s_barrier_wait -1
	global_inv scope:SCOPE_SE
	v_fma_f64 v[10:11], v[36:37], v[28:29], -v[10:11]
	s_delay_alu instid0(VALU_DEP_1) | instskip(NEXT) | instid1(VALU_DEP_1)
	v_add_f64_e64 v[10:11], v[44:45], -v[10:11]
	v_add_f64_e64 v[28:29], v[10:11], -v[40:41]
	v_fma_f64 v[30:31], v[44:45], 2.0, -v[10:11]
	s_delay_alu instid0(VALU_DEP_2) | instskip(NEXT) | instid1(VALU_DEP_2)
	v_fma_f64 v[10:11], v[10:11], 2.0, -v[28:29]
	v_add_f64_e64 v[4:5], v[30:31], -v[4:5]
	v_add_f64_e32 v[36:37], v[28:29], v[100:101]
	s_delay_alu instid0(VALU_DEP_3) | instskip(NEXT) | instid1(VALU_DEP_3)
	v_add_f64_e64 v[38:39], v[10:11], -v[102:103]
	v_add_f64_e64 v[40:41], v[4:5], -v[74:75]
	s_delay_alu instid0(VALU_DEP_3) | instskip(SKIP_1) | instid1(VALU_DEP_4)
	v_add_f64_e64 v[36:37], v[36:37], -v[98:99]
	v_fma_f64 v[30:31], v[30:31], 2.0, -v[4:5]
	v_add_f64_e64 v[38:39], v[38:39], -v[96:97]
	s_delay_alu instid0(VALU_DEP_4) | instskip(NEXT) | instid1(VALU_DEP_4)
	v_fma_f64 v[44:45], v[4:5], 2.0, -v[40:41]
	v_fma_f64 v[28:29], v[28:29], 2.0, -v[36:37]
	s_delay_alu instid0(VALU_DEP_4)
	v_add_f64_e64 v[8:9], v[30:31], -v[8:9]
	v_add_f64_e32 v[4:5], v[40:41], v[94:95]
	v_fma_f64 v[58:59], v[60:61], s[14:15], v[36:37]
	v_fma_f64 v[10:11], v[10:11], 2.0, -v[38:39]
	v_add_f64_e64 v[60:61], v[44:45], -v[92:93]
	v_fma_f64 v[74:75], v[80:81], s[8:9], v[28:29]
	v_fma_f64 v[76:77], v[76:77], s[12:13], v[38:39]
	v_fma_f64 v[30:31], v[30:31], 2.0, -v[8:9]
	v_add_f64_e64 v[80:81], v[4:5], -v[90:91]
	v_fma_f64 v[4:5], v[46:47], s[8:9], v[58:59]
	v_add_f64_e64 v[46:47], v[8:9], -v[50:51]
	v_add_nc_u32_e32 v50, 0x400, v122
	v_fma_f64 v[78:79], v[82:83], s[6:7], v[10:11]
	v_add_f64_e64 v[58:59], v[60:61], -v[88:89]
	v_fma_f64 v[54:55], v[54:55], s[6:7], v[74:75]
	v_fma_f64 v[42:43], v[42:43], s[6:7], v[76:77]
	v_add_f64_e64 v[56:57], v[30:31], -v[56:57]
	v_fma_f64 v[40:41], v[40:41], 2.0, -v[80:81]
	v_fma_f64 v[36:37], v[36:37], 2.0, -v[4:5]
	;; [unrolled: 1-line block ×3, first 2 shown]
	v_add_nc_u32_e32 v74, 0x800, v122
	v_fma_f64 v[51:52], v[52:53], s[8:9], v[78:79]
	v_fma_f64 v[44:45], v[44:45], 2.0, -v[58:59]
	v_fma_f64 v[28:29], v[28:29], 2.0, -v[54:55]
	;; [unrolled: 1-line block ×5, first 2 shown]
	ds_store_2addr_b64 v104, v[80:81], v[4:5] offset0:42 offset1:45
	ds_store_2addr_b64 v104, v[40:41], v[36:37] offset0:18 offset1:21
	;; [unrolled: 1-line block ×7, first 2 shown]
	ds_store_2addr_b64 v104, v[30:31], v[10:11] offset1:3
	global_wb scope:SCOPE_SE
	s_wait_dscnt 0x0
	s_barrier_signal -1
	s_barrier_wait -1
	global_inv scope:SCOPE_SE
	ds_load_2addr_b64 v[36:39], v122 offset0:144 offset1:171
	ds_load_2addr_b64 v[8:11], v50 offset0:124 offset1:160
	;; [unrolled: 1-line block ×4, first 2 shown]
	ds_load_b64 v[60:61], v121
	ds_load_b64 v[58:59], v124
	ds_load_b64 v[56:57], v125
	ds_load_b64 v[52:53], v126
	ds_load_2addr_b64 v[28:31], v74 offset0:113 offset1:140
	ds_load_b64 v[54:55], v123
	s_and_saveexec_b32 s1, vcc_lo
	s_cbranch_execz .LBB0_23
; %bb.22:
	ds_load_2addr_b64 v[4:7], v50 offset0:7 offset1:151
	ds_load_b64 v[48:49], v122 offset:3384
.LBB0_23:
	s_wait_alu 0xfffe
	s_or_b32 exec_lo, exec_lo, s1
	v_dual_mov_b32 v75, 0 :: v_dual_lshlrev_b32 v74, 1, v114
	v_subrev_nc_u32_e32 v50, 21, v114
	v_cmp_gt_u32_e64 s1, 21, v114
	v_and_b32_e32 v78, 0xff, v117
	v_and_b32_e32 v79, 0xff, v118
	v_dual_mov_b32 v77, v75 :: v_dual_and_b32 v80, 0xff, v119
	s_wait_alu 0xf1ff
	v_cndmask_b32_e64 v173, v50, v115, s1
	v_mul_lo_u16 v78, 0xab, v78
	v_mul_lo_u16 v79, 0xab, v79
	v_lshlrev_b64_e32 v[50:51], 4, v[74:75]
	v_add_nc_u32_e32 v74, 12, v74
	v_lshlrev_b32_e32 v76, 1, v173
	v_lshrrev_b16 v174, 13, v78
	v_lshrrev_b16 v78, 13, v79
	v_mul_lo_u16 v79, 0xab, v80
	v_add_co_u32 v50, s1, s4, v50
	v_lshlrev_b64_e32 v[76:77], 4, v[76:77]
	v_mul_lo_u16 v80, v174, 48
	s_delay_alu instid0(VALU_DEP_4)
	v_lshrrev_b16 v79, 13, v79
	v_lshlrev_b64_e32 v[74:75], 4, v[74:75]
	v_mul_lo_u16 v78, v78, 48
	s_wait_alu 0xf1ff
	v_add_co_ci_u32_e64 v51, s1, s5, v51, s1
	v_mul_lo_u16 v79, v79, 48
	v_add_co_u32 v76, s1, s4, v76
	v_sub_nc_u16 v80, v117, v80
	s_wait_alu 0xf1ff
	v_add_co_ci_u32_e64 v77, s1, s5, v77, s1
	v_sub_nc_u16 v78, v118, v78
	v_add_co_u32 v74, s1, s4, v74
	v_sub_nc_u16 v79, v119, v79
	s_wait_alu 0xf1ff
	v_add_co_ci_u32_e64 v75, s1, s5, v75, s1
	v_and_b32_e32 v175, 0xff, v80
	v_and_b32_e32 v176, 0xff, v78
	v_and_b32_e32 v177, 0xff, v79
	s_clause 0x3
	global_load_b128 v[88:91], v[50:51], off offset:720
	global_load_b128 v[92:95], v[50:51], off offset:736
	;; [unrolled: 1-line block ×4, first 2 shown]
	v_lshlrev_b32_e32 v74, 5, v175
	v_lshlrev_b32_e32 v75, 5, v176
	s_clause 0x1
	global_load_b128 v[127:130], v[76:77], off offset:720
	global_load_b128 v[131:134], v[76:77], off offset:736
	v_lshlrev_b32_e32 v76, 5, v177
	s_clause 0x5
	global_load_b128 v[135:138], v74, s[4:5] offset:720
	global_load_b128 v[139:142], v74, s[4:5] offset:736
	;; [unrolled: 1-line block ×6, first 2 shown]
	s_mov_b32 s6, 0xe8584caa
	s_mov_b32 s7, 0xbfebb67a
	;; [unrolled: 1-line block ×3, first 2 shown]
	s_wait_alu 0xfffe
	s_mov_b32 s8, s6
	v_cmp_lt_u32_e64 s1, 20, v114
	global_wb scope:SCOPE_SE
	s_wait_loadcnt_dscnt 0x0
	s_barrier_signal -1
	s_barrier_wait -1
	global_inv scope:SCOPE_SE
	v_mul_f64_e32 v[74:75], v[36:37], v[90:91]
	v_mul_f64_e32 v[76:77], v[10:11], v[94:95]
	;; [unrolled: 1-line block ×23, first 2 shown]
	v_fma_f64 v[108:109], v[16:17], v[88:89], v[74:75]
	v_fma_f64 v[110:111], v[14:15], v[92:93], v[76:77]
	;; [unrolled: 1-line block ×3, first 2 shown]
	v_mul_f64_e32 v[14:15], v[68:69], v[157:158]
	v_fma_f64 v[98:99], v[18:19], v[127:128], v[82:83]
	v_fma_f64 v[106:107], v[24:25], v[131:132], v[104:105]
	;; [unrolled: 1-line block ×9, first 2 shown]
	v_fma_f64 v[112:113], v[36:37], v[88:89], -v[90:91]
	v_fma_f64 v[32:33], v[10:11], v[92:93], -v[94:95]
	;; [unrolled: 1-line block ×11, first 2 shown]
	v_add_f64_e32 v[18:19], v[72:73], v[108:109]
	v_add_f64_e32 v[2:3], v[108:109], v[110:111]
	;; [unrolled: 1-line block ×3, first 2 shown]
	v_fma_f64 v[6:7], v[48:49], v[155:156], -v[14:15]
	v_add_f64_e32 v[26:27], v[62:63], v[98:99]
	v_add_f64_e32 v[12:13], v[98:99], v[106:107]
	;; [unrolled: 1-line block ×9, first 2 shown]
	v_add_f64_e64 v[20:21], v[112:113], -v[32:33]
	v_add_f64_e64 v[24:25], v[44:45], -v[34:35]
	v_add_f64_e32 v[18:19], v[18:19], v[110:111]
	v_fma_f64 v[2:3], v[2:3], -0.5, v[72:73]
	v_add_f64_e64 v[72:73], v[38:39], -v[36:37]
	v_add_f64_e32 v[22:23], v[22:23], v[76:77]
	v_add_f64_e32 v[26:27], v[26:27], v[106:107]
	v_fma_f64 v[12:13], v[12:13], -0.5, v[62:63]
	v_add_f64_e64 v[62:63], v[40:41], -v[28:29]
	v_fma_f64 v[16:17], v[16:17], -0.5, v[66:67]
	v_add_f64_e64 v[66:67], v[46:47], -v[6:7]
	v_fma_f64 v[14:15], v[14:15], -0.5, v[0:1]
	v_fma_f64 v[10:11], v[10:11], -0.5, v[70:71]
	v_add_f64_e32 v[92:93], v[88:89], v[104:105]
	v_fma_f64 v[8:9], v[8:9], -0.5, v[64:65]
	v_add_f64_e64 v[64:65], v[42:43], -v[30:31]
	v_add_f64_e32 v[0:1], v[90:91], v[68:69]
	v_add_f64_e32 v[70:71], v[48:49], v[102:103]
	v_and_b32_e32 v49, 0xffff, v174
	v_fma_f64 v[90:91], v[20:21], s[6:7], v[2:3]
	s_wait_alu 0xfffe
	v_fma_f64 v[20:21], v[20:21], s[8:9], v[2:3]
	v_fma_f64 v[96:97], v[72:73], s[6:7], v[12:13]
	;; [unrolled: 1-line block ×11, first 2 shown]
	s_wait_alu 0xf1ff
	v_cndmask_b32_e64 v14, 0, 0x480, s1
	v_lshlrev_b32_e32 v15, 3, v173
	v_lshlrev_b32_e32 v63, 3, v175
	s_delay_alu instid0(VALU_DEP_3) | instskip(NEXT) | instid1(VALU_DEP_1)
	v_add_nc_u32_e32 v14, 0, v14
	v_add3_u32 v48, v14, v15, v120
	v_lshlrev_b32_e32 v14, 3, v176
	v_mad_u32_u24 v15, 0x480, v49, 0
	v_lshlrev_b32_e32 v49, 3, v177
	s_delay_alu instid0(VALU_DEP_3) | instskip(NEXT) | instid1(VALU_DEP_3)
	v_add3_u32 v62, 0, v14, v120
	v_add3_u32 v63, v15, v63, v120
	s_delay_alu instid0(VALU_DEP_2)
	v_add_nc_u32_e32 v14, 0x800, v62
	ds_store_2addr_b64 v122, v[18:19], v[90:91] offset1:48
	ds_store_b64 v122, v[20:21] offset:768
	ds_store_2addr_b64 v48, v[26:27], v[96:97] offset1:48
	ds_store_b64 v48, v[12:13] offset:768
	ds_store_2addr_b64 v122, v[22:23], v[94:95] offset0:150 offset1:198
	ds_store_b64 v122, v[10:11] offset:1968
	ds_store_2addr_b64 v63, v[70:71], v[24:25] offset1:48
	ds_store_b64 v63, v[8:9] offset:768
	ds_store_2addr_b64 v14, v[92:93], v[72:73] offset0:32 offset1:80
	ds_store_b64 v62, v[16:17] offset:3072
	s_and_saveexec_b32 s1, vcc_lo
	s_cbranch_execz .LBB0_25
; %bb.24:
	v_add3_u32 v8, 0, v49, v120
	s_delay_alu instid0(VALU_DEP_1)
	v_add_nc_u32_e32 v9, 0x800, v8
	ds_store_2addr_b64 v9, v[0:1], v[2:3] offset0:32 offset1:80
	ds_store_b64 v8, v[88:89] offset:3072
.LBB0_25:
	s_wait_alu 0xfffe
	s_or_b32 exec_lo, exec_lo, s1
	v_add_nc_u32_e32 v66, 0x400, v122
	v_add_nc_u32_e32 v24, 0x800, v122
	global_wb scope:SCOPE_SE
	s_wait_dscnt 0x0
	s_barrier_signal -1
	s_barrier_wait -1
	global_inv scope:SCOPE_SE
	ds_load_2addr_b64 v[20:23], v122 offset0:144 offset1:171
	ds_load_2addr_b64 v[16:19], v66 offset0:124 offset1:160
	;; [unrolled: 1-line block ×4, first 2 shown]
	ds_load_b64 v[100:101], v121
	ds_load_b64 v[94:95], v124
	;; [unrolled: 1-line block ×4, first 2 shown]
	ds_load_2addr_b64 v[24:27], v24 offset0:113 offset1:140
	ds_load_b64 v[96:97], v123
	v_add_nc_u32_e32 v64, 48, v122
	v_add_nc_u32_e32 v65, 0x600, v122
	s_and_saveexec_b32 s1, vcc_lo
	s_cbranch_execz .LBB0_27
; %bb.26:
	ds_load_2addr_b64 v[0:3], v66 offset0:7 offset1:151
	ds_load_b64 v[88:89], v122 offset:3384
.LBB0_27:
	s_wait_alu 0xfffe
	s_or_b32 exec_lo, exec_lo, s1
	v_add_f64_e32 v[66:67], v[112:113], v[32:33]
	v_add_f64_e32 v[70:71], v[38:39], v[36:37]
	;; [unrolled: 1-line block ×7, first 2 shown]
	v_add_f64_e64 v[108:109], v[108:109], -v[110:111]
	v_add_f64_e32 v[38:39], v[58:59], v[38:39]
	v_add_f64_e32 v[46:47], v[4:5], v[46:47]
	v_add_f64_e64 v[68:69], v[78:79], -v[68:69]
	v_add_f64_e32 v[40:41], v[52:53], v[40:41]
	v_add_f64_e32 v[42:43], v[54:55], v[42:43]
	;; [unrolled: 1-line block ×3, first 2 shown]
	s_mov_b32 s6, 0xe8584caa
	s_mov_b32 s7, 0x3febb67a
	;; [unrolled: 1-line block ×3, first 2 shown]
	s_wait_alu 0xfffe
	s_mov_b32 s8, s6
	global_wb scope:SCOPE_SE
	s_wait_dscnt 0x0
	s_barrier_signal -1
	s_barrier_wait -1
	global_inv scope:SCOPE_SE
	v_fma_f64 v[60:61], v[66:67], -0.5, v[60:61]
	v_fma_f64 v[58:59], v[70:71], -0.5, v[58:59]
	v_add_f64_e64 v[70:71], v[74:75], -v[76:77]
	v_fma_f64 v[76:77], v[131:132], -0.5, v[4:5]
	v_add_f64_e64 v[66:67], v[98:99], -v[106:107]
	v_fma_f64 v[56:57], v[72:73], -0.5, v[56:57]
	v_add_f64_e64 v[72:73], v[80:81], -v[102:103]
	v_fma_f64 v[52:53], v[127:128], -0.5, v[52:53]
	v_add_f64_e64 v[74:75], v[82:83], -v[104:105]
	v_fma_f64 v[54:55], v[129:130], -0.5, v[54:55]
	v_add_f64_e32 v[32:33], v[112:113], v[32:33]
	v_add_f64_e32 v[36:37], v[38:39], v[36:37]
	v_add_f64_e32 v[4:5], v[46:47], v[6:7]
	v_add_f64_e32 v[28:29], v[40:41], v[28:29]
	v_add_f64_e32 v[30:31], v[42:43], v[30:31]
	v_add_f64_e32 v[34:35], v[44:45], v[34:35]
	v_fma_f64 v[38:39], v[108:109], s[6:7], v[60:61]
	s_wait_alu 0xfffe
	v_fma_f64 v[40:41], v[108:109], s[8:9], v[60:61]
	v_fma_f64 v[6:7], v[68:69], s[6:7], v[76:77]
	;; [unrolled: 1-line block ×11, first 2 shown]
	v_add_nc_u32_e32 v66, 0x800, v62
	ds_store_2addr_b64 v122, v[32:33], v[38:39] offset1:48
	ds_store_b64 v122, v[40:41] offset:768
	ds_store_2addr_b64 v48, v[36:37], v[42:43] offset1:48
	ds_store_b64 v48, v[44:45] offset:768
	ds_store_b64 v65, v[46:47] offset:48
	ds_store_2addr_b64 v64, v[34:35], v[56:57] offset0:144 offset1:240
	ds_store_2addr_b64 v63, v[28:29], v[58:59] offset1:48
	ds_store_b64 v63, v[52:53] offset:768
	ds_store_2addr_b64 v66, v[30:31], v[60:61] offset0:32 offset1:80
	ds_store_b64 v62, v[54:55] offset:3072
	s_and_saveexec_b32 s1, vcc_lo
	s_cbranch_execz .LBB0_29
; %bb.28:
	v_add3_u32 v28, 0, v49, v120
	s_delay_alu instid0(VALU_DEP_1)
	v_add_nc_u32_e32 v29, 0x800, v28
	ds_store_2addr_b64 v29, v[4:5], v[6:7] offset0:32 offset1:80
	ds_store_b64 v28, v[98:99] offset:3072
.LBB0_29:
	s_wait_alu 0xfffe
	s_or_b32 exec_lo, exec_lo, s1
	v_add_nc_u32_e32 v48, 0x400, v122
	v_add_nc_u32_e32 v44, 0x800, v122
	global_wb scope:SCOPE_SE
	s_wait_dscnt 0x0
	s_barrier_signal -1
	s_barrier_wait -1
	global_inv scope:SCOPE_SE
	ds_load_2addr_b64 v[28:31], v122 offset0:144 offset1:171
	ds_load_2addr_b64 v[40:43], v48 offset0:124 offset1:160
	;; [unrolled: 1-line block ×4, first 2 shown]
	ds_load_b64 v[108:109], v121
	ds_load_b64 v[102:103], v124
	;; [unrolled: 1-line block ×4, first 2 shown]
	ds_load_2addr_b64 v[44:47], v44 offset0:113 offset1:140
	ds_load_b64 v[110:111], v123
	s_and_saveexec_b32 s1, vcc_lo
	s_cbranch_execz .LBB0_31
; %bb.30:
	ds_load_2addr_b64 v[4:7], v48 offset0:7 offset1:151
	ds_load_b64 v[98:99], v122 offset:3384
.LBB0_31:
	s_wait_alu 0xfffe
	s_or_b32 exec_lo, exec_lo, s1
	s_and_saveexec_b32 s1, s0
	s_cbranch_execz .LBB0_34
; %bb.32:
	v_dual_mov_b32 v113, 0 :: v_dual_lshlrev_b32 v112, 1, v118
	s_clause 0x1
	global_load_b128 v[120:123], v[50:51], off offset:2256
	global_load_b128 v[60:63], v[50:51], off offset:2272
	v_add_nc_u32_e32 v118, 54, v114
	v_add_nc_u32_e32 v124, 0x51, v114
	v_add_nc_u32_e32 v125, 0x6c, v114
	v_lshlrev_b64_e32 v[48:49], 4, v[112:113]
	v_lshlrev_b32_e32 v112, 1, v117
	v_add_nc_u32_e32 v117, 27, v114
	v_mul_hi_u32 v127, 0x38e38e39, v118
	v_mul_hi_u32 v128, 0x38e38e39, v124
	;; [unrolled: 1-line block ×3, first 2 shown]
	v_lshlrev_b64_e32 v[50:51], 4, v[112:113]
	v_lshlrev_b32_e32 v112, 1, v116
	v_add_co_u32 v52, s0, s4, v48
	s_wait_alu 0xf1ff
	v_add_co_ci_u32_e64 v53, s0, s5, v49, s0
	s_delay_alu instid0(VALU_DEP_3) | instskip(SKIP_4) | instid1(VALU_DEP_3)
	v_lshlrev_b64_e32 v[56:57], 4, v[112:113]
	v_lshlrev_b32_e32 v112, 1, v115
	v_add_co_u32 v64, s0, s4, v50
	s_wait_alu 0xf1ff
	v_add_co_ci_u32_e64 v65, s0, s5, v51, s0
	v_lshlrev_b64_e32 v[58:59], 4, v[112:113]
	v_add_co_u32 v72, s0, s4, v56
	s_wait_alu 0xf1ff
	v_add_co_ci_u32_e64 v73, s0, s5, v57, s0
	s_clause 0x1
	global_load_b128 v[48:51], v[52:53], off offset:2272
	global_load_b128 v[52:55], v[52:53], off offset:2256
	v_add_co_u32 v76, s0, s4, v58
	s_wait_alu 0xf1ff
	v_add_co_ci_u32_e64 v77, s0, s5, v59, s0
	s_clause 0x5
	global_load_b128 v[56:59], v[64:65], off offset:2272
	global_load_b128 v[64:67], v[64:65], off offset:2256
	;; [unrolled: 1-line block ×6, first 2 shown]
	v_mul_hi_u32 v116, 0x38e38e39, v114
	v_mul_hi_u32 v126, 0x38e38e39, v117
	v_mul_lo_u32 v112, s3, v86
	v_mul_lo_u32 v115, s2, v87
	v_mad_co_u64_u32 v[86:87], null, s2, v86, 0
	v_lshrrev_b32_e32 v131, 5, v127
	v_lshrrev_b32_e32 v132, 5, v128
	;; [unrolled: 1-line block ×5, first 2 shown]
	v_lshlrev_b64_e32 v[84:85], 4, v[84:85]
	v_add3_u32 v87, v87, v115, v112
	v_mul_lo_u32 v112, 0x90, v116
	v_mul_lo_u32 v115, 0x90, v130
	;; [unrolled: 1-line block ×4, first 2 shown]
	v_lshlrev_b64_e32 v[86:87], 4, v[86:87]
	v_mul_lo_u32 v127, 0x90, v133
	s_mov_b32 s2, 0xe8584caa
	s_mov_b32 s3, 0xbfebb67a
	v_sub_nc_u32_e32 v134, v114, v112
	v_sub_nc_u32_e32 v112, v117, v115
	v_sub_nc_u32_e32 v115, v118, v116
	v_sub_nc_u32_e32 v116, v124, v126
	v_add_co_u32 v86, s0, s10, v86
	s_delay_alu instid0(VALU_DEP_4) | instskip(NEXT) | instid1(VALU_DEP_3)
	v_mad_co_u64_u32 v[128:129], null, 0x1b0, v130, v[112:113]
	v_mad_co_u64_u32 v[129:130], null, 0x1b0, v131, v[115:116]
	s_wait_alu 0xf1ff
	v_add_co_ci_u32_e64 v87, s0, s11, v87, s0
	v_add_nc_u32_e32 v138, 0x90, v134
	v_add_co_u32 v84, s0, v86, v84
	v_sub_nc_u32_e32 v117, v125, v127
	v_add_nc_u32_e32 v163, 0x90, v129
	s_wait_alu 0xf1ff
	v_add_co_ci_u32_e64 v85, s0, v87, v85, s0
	v_mad_co_u64_u32 v[86:87], null, s16, v134, 0
	s_delay_alu instid0(VALU_DEP_3) | instskip(SKIP_3) | instid1(VALU_DEP_3)
	v_mad_co_u64_u32 v[144:145], null, s16, v163, 0
	v_add_nc_u32_e32 v140, 0x120, v134
	v_mad_co_u64_u32 v[124:125], null, s16, v138, 0
	v_mad_co_u64_u32 v[115:116], null, 0x1b0, v132, v[116:117]
	;; [unrolled: 1-line block ×5, first 2 shown]
	v_mov_b32_e32 v87, v125
	v_mad_co_u64_u32 v[130:131], null, s16, v128, 0
	v_mov_b32_e32 v112, v127
	v_mad_co_u64_u32 v[136:137], null, s16, v116, 0
	s_delay_alu instid0(VALU_DEP_4) | instskip(SKIP_1) | instid1(VALU_DEP_4)
	v_mad_co_u64_u32 v[138:139], null, s17, v138, v[87:88]
	v_mad_co_u64_u32 v[134:135], null, s16, v115, 0
	;; [unrolled: 1-line block ×3, first 2 shown]
	v_mov_b32_e32 v112, v131
	v_mad_co_u64_u32 v[132:133], null, s16, v129, 0
	v_mov_b32_e32 v131, v137
	v_mov_b32_e32 v125, v138
	s_delay_alu instid0(VALU_DEP_4)
	v_mad_co_u64_u32 v[137:138], null, s17, v128, v[112:113]
	v_mov_b32_e32 v118, v135
	v_add_nc_u32_e32 v164, 0x120, v129
	v_add_nc_u32_e32 v167, 0x90, v116
	v_mov_b32_e32 v87, v117
	v_mov_b32_e32 v117, v133
	v_mad_co_u64_u32 v[156:157], null, s17, v115, v[118:119]
	v_mad_co_u64_u32 v[157:158], null, s17, v116, v[131:132]
	v_mov_b32_e32 v131, v137
	v_mad_co_u64_u32 v[146:147], null, s16, v164, 0
	v_add_nc_u32_e32 v160, 0x90, v128
	v_mad_co_u64_u32 v[152:153], null, s16, v167, 0
	v_add_nc_u32_e32 v165, 0x90, v115
	v_mov_b32_e32 v127, v139
	v_mad_co_u64_u32 v[138:139], null, s17, v129, v[117:118]
	v_dual_mov_b32 v115, v147 :: v_dual_add_nc_u32 v166, 0x120, v115
	v_mad_co_u64_u32 v[140:141], null, s16, v160, 0
	v_dual_mov_b32 v129, v153 :: v_dual_add_nc_u32 v162, 0x120, v128
	s_delay_alu instid0(VALU_DEP_4) | instskip(NEXT) | instid1(VALU_DEP_4)
	v_mov_b32_e32 v133, v138
	v_mad_co_u64_u32 v[150:151], null, s16, v166, 0
	s_delay_alu instid0(VALU_DEP_3) | instskip(SKIP_4) | instid1(VALU_DEP_4)
	v_mad_co_u64_u32 v[142:143], null, s16, v162, 0
	v_mov_b32_e32 v112, v141
	v_mad_co_u64_u32 v[148:149], null, s16, v165, 0
	v_dual_mov_b32 v117, v145 :: v_dual_add_nc_u32 v180, 0x120, v116
	v_mov_b32_e32 v135, v156
	v_mad_co_u64_u32 v[160:161], null, s17, v160, v[112:113]
	v_mov_b32_e32 v128, v143
	v_mov_b32_e32 v118, v151
	v_dual_mov_b32 v116, v149 :: v_dual_mov_b32 v137, v157
	v_mad_co_u64_u32 v[154:155], null, s16, v180, 0
	s_delay_alu instid0(VALU_DEP_4)
	v_mad_co_u64_u32 v[161:162], null, s17, v162, v[128:129]
	v_mov_b32_e32 v141, v160
	v_mad_co_u64_u32 v[162:163], null, s17, v163, v[117:118]
	v_mad_co_u64_u32 v[163:164], null, s17, v164, v[115:116]
	;; [unrolled: 1-line block ×5, first 2 shown]
	s_delay_alu instid0(VALU_DEP_4) | instskip(SKIP_1) | instid1(VALU_DEP_4)
	v_mov_b32_e32 v147, v163
	s_mov_b32 s7, 0x3febb67a
	v_mov_b32_e32 v149, v115
	s_wait_alu 0xfffe
	s_mov_b32 s6, s2
	s_delay_alu instid0(VALU_DEP_4) | instskip(SKIP_4) | instid1(VALU_DEP_4)
	v_mov_b32_e32 v151, v116
	v_lshlrev_b64_e32 v[86:87], 4, v[86:87]
	v_mov_b32_e32 v153, v117
	v_mov_b32_e32 v143, v161
	;; [unrolled: 1-line block ×3, first 2 shown]
	v_add_co_u32 v86, s0, v84, v86
	s_wait_alu 0xf1ff
	v_add_co_ci_u32_e64 v87, s0, v85, v87, s0
	s_wait_loadcnt 0x9
	v_mul_f64_e32 v[158:159], v[20:21], v[122:123]
	s_wait_dscnt 0x9
	v_mul_f64_e32 v[122:123], v[28:29], v[122:123]
	s_wait_loadcnt 0x8
	v_mul_f64_e32 v[128:129], v[18:19], v[62:63]
	s_wait_dscnt 0x8
	v_mul_f64_e32 v[62:63], v[42:43], v[62:63]
	s_wait_loadcnt 0x7
	v_mul_f64_e32 v[166:167], v[26:27], v[50:51]
	s_wait_loadcnt 0x6
	;; [unrolled: 2-line block ×7, first 2 shown]
	v_mul_f64_e32 v[178:179], v[8:9], v[78:79]
	v_mul_f64_e32 v[82:83], v[30:31], v[82:83]
	s_wait_dscnt 0x7
	v_mul_f64_e32 v[78:79], v[32:33], v[78:79]
	v_mul_f64_e32 v[174:175], v[10:11], v[74:75]
	;; [unrolled: 1-line block ×3, first 2 shown]
	s_wait_dscnt 0x1
	v_mul_f64_e32 v[50:51], v[46:47], v[50:51]
	v_mul_f64_e32 v[70:71], v[36:37], v[70:71]
	;; [unrolled: 1-line block ×5, first 2 shown]
	v_fma_f64 v[28:29], v[28:29], v[120:121], -v[158:159]
	v_fma_f64 v[120:121], v[20:21], v[120:121], v[122:123]
	v_mov_b32_e32 v20, v155
	v_fma_f64 v[42:43], v[42:43], v[60:61], -v[128:129]
	v_fma_f64 v[18:19], v[18:19], v[60:61], v[62:63]
	s_delay_alu instid0(VALU_DEP_3) | instskip(SKIP_2) | instid1(VALU_DEP_3)
	v_mad_co_u64_u32 v[122:123], null, s17, v180, v[20:21]
	v_lshlrev_b64_e32 v[123:124], 4, v[124:125]
	v_lshlrev_b64_e32 v[125:126], 4, v[126:127]
	v_dual_mov_b32 v155, v122 :: v_dual_add_nc_u32 v20, 0x87, v114
	s_delay_alu instid0(VALU_DEP_1) | instskip(NEXT) | instid1(VALU_DEP_2)
	v_cmp_gt_u32_e64 s0, 0x90, v20
	v_lshlrev_b64_e32 v[115:116], 4, v[154:155]
	v_fma_f64 v[46:47], v[46:47], v[48:49], -v[166:167]
	v_fma_f64 v[40:41], v[40:41], v[52:53], -v[164:165]
	;; [unrolled: 1-line block ×7, first 2 shown]
	v_fma_f64 v[21:22], v[22:23], v[80:81], v[82:83]
	v_fma_f64 v[60:61], v[8:9], v[76:77], v[78:79]
	v_fma_f64 v[34:35], v[34:35], v[72:73], -v[174:175]
	v_fma_f64 v[8:9], v[16:17], v[52:53], v[54:55]
	v_fma_f64 v[16:17], v[26:27], v[48:49], v[50:51]
	;; [unrolled: 1-line block ×6, first 2 shown]
	v_add_co_u32 v76, s1, v84, v123
	v_lshlrev_b64_e32 v[14:15], 4, v[130:131]
	s_wait_alu 0xf1ff
	v_add_co_ci_u32_e64 v77, s1, v85, v124, s1
	v_add_f64_e32 v[58:59], v[28:29], v[42:43]
	v_add_f64_e32 v[62:63], v[120:121], v[18:19]
	v_add_co_u32 v69, s1, v84, v125
	s_wait_alu 0xf1ff
	v_add_co_ci_u32_e64 v70, s1, v85, v126, s1
	v_add_co_u32 v126, s1, v84, v14
	s_wait_alu 0xf1ff
	v_add_co_ci_u32_e64 v127, s1, v85, v15, s1
	v_lshlrev_b64_e32 v[48:49], 4, v[132:133]
	v_lshlrev_b64_e32 v[50:51], 4, v[134:135]
	;; [unrolled: 1-line block ×3, first 2 shown]
	v_add_f64_e64 v[136:137], v[28:29], -v[42:43]
	v_lshlrev_b64_e32 v[54:55], 4, v[140:141]
	v_lshlrev_b64_e32 v[71:72], 4, v[144:145]
	v_add_co_u32 v132, s1, v84, v48
	v_add_f64_e32 v[64:65], v[40:41], v[46:47]
	s_wait_alu 0xf1ff
	v_add_co_ci_u32_e64 v133, s1, v85, v49, s1
	v_add_f64_e32 v[66:67], v[38:39], v[44:45]
	v_add_co_u32 v134, s1, v84, v50
	v_add_f64_e32 v[122:123], v[30:31], v[32:33]
	v_add_f64_e32 v[124:125], v[21:22], v[60:61]
	;; [unrolled: 1-line block ×3, first 2 shown]
	s_wait_alu 0xf1ff
	v_add_co_ci_u32_e64 v135, s1, v85, v51, s1
	v_add_f64_e32 v[128:129], v[8:9], v[16:17]
	v_add_f64_e32 v[14:15], v[12:13], v[26:27]
	;; [unrolled: 1-line block ×5, first 2 shown]
	v_lshlrev_b64_e32 v[73:74], 4, v[146:147]
	v_lshlrev_b64_e32 v[78:79], 4, v[148:149]
	;; [unrolled: 1-line block ×3, first 2 shown]
	v_add_f64_e64 v[48:49], v[120:121], -v[18:19]
	s_wait_dscnt 0x0
	v_add_f64_e32 v[138:139], v[110:111], v[40:41]
	v_add_f64_e64 v[140:141], v[40:41], -v[46:47]
	v_add_f64_e32 v[40:41], v[96:97], v[8:9]
	v_add_f64_e32 v[144:145], v[90:91], v[10:11]
	;; [unrolled: 1-line block ×5, first 2 shown]
	v_fma_f64 v[58:59], v[58:59], -0.5, v[108:109]
	v_fma_f64 v[62:63], v[62:63], -0.5, v[100:101]
	v_lshlrev_b64_e32 v[82:83], 4, v[152:153]
	v_add_f64_e32 v[152:153], v[94:95], v[21:22]
	v_lshlrev_b64_e32 v[56:57], 4, v[142:143]
	v_add_f64_e32 v[142:143], v[106:107], v[38:39]
	v_add_f64_e64 v[120:121], v[8:9], -v[16:17]
	v_add_f64_e64 v[100:101], v[12:13], -v[26:27]
	;; [unrolled: 1-line block ×3, first 2 shown]
	v_fma_f64 v[64:65], v[64:65], -0.5, v[110:111]
	v_add_f64_e64 v[110:111], v[21:22], -v[60:61]
	v_fma_f64 v[66:67], v[66:67], -0.5, v[106:107]
	v_add_f64_e64 v[106:107], v[30:31], -v[32:33]
	v_fma_f64 v[102:103], v[122:123], -0.5, v[102:103]
	v_fma_f64 v[94:95], v[124:125], -0.5, v[94:95]
	;; [unrolled: 1-line block ×3, first 2 shown]
	v_add_f64_e64 v[117:118], v[38:39], -v[44:45]
	v_add_f64_e64 v[37:38], v[36:37], -v[34:35]
	v_fma_f64 v[96:97], v[128:129], -0.5, v[96:97]
	v_fma_f64 v[92:93], v[14:15], -0.5, v[92:93]
	v_add_co_u32 v122, s1, v84, v52
	v_fma_f64 v[90:91], v[130:131], -0.5, v[90:91]
	s_wait_alu 0xf1ff
	v_add_co_ci_u32_e64 v123, s1, v85, v53, s1
	v_add_co_u32 v124, s1, v84, v54
	v_add_f64_e32 v[10:11], v[50:51], v[42:43]
	v_add_f64_e32 v[8:9], v[28:29], v[18:19]
	s_wait_alu 0xf1ff
	v_add_co_ci_u32_e64 v125, s1, v85, v55, s1
	v_add_f64_e32 v[12:13], v[40:41], v[16:17]
	v_add_f64_e32 v[16:17], v[144:145], v[23:24]
	;; [unrolled: 1-line block ×5, first 2 shown]
	s_wait_alu 0xfffe
	v_fma_f64 v[35:36], v[48:49], s[6:7], v[58:59]
	v_fma_f64 v[33:34], v[136:137], s[2:3], v[62:63]
	v_add_co_u32 v128, s1, v84, v56
	v_fma_f64 v[31:32], v[48:49], s[2:3], v[58:59]
	v_fma_f64 v[29:30], v[136:137], s[6:7], v[62:63]
	v_add_f64_e32 v[25:26], v[152:153], v[60:61]
	s_wait_alu 0xf1ff
	v_add_co_ci_u32_e64 v129, s1, v85, v57, s1
	v_add_f64_e32 v[18:19], v[142:143], v[44:45]
	v_fma_f64 v[39:40], v[120:121], s[2:3], v[64:65]
	v_fma_f64 v[43:44], v[120:121], s[6:7], v[64:65]
	v_add_f64_e32 v[14:15], v[138:139], v[46:47]
	v_fma_f64 v[47:48], v[108:109], s[2:3], v[66:67]
	v_fma_f64 v[67:68], v[108:109], s[6:7], v[66:67]
	;; [unrolled: 1-line block ×14, first 2 shown]
	v_add_co_u32 v71, s1, v84, v71
	s_wait_alu 0xf1ff
	v_add_co_ci_u32_e64 v72, s1, v85, v72, s1
	v_add_co_u32 v73, s1, v84, v73
	s_wait_alu 0xf1ff
	v_add_co_ci_u32_e64 v74, s1, v85, v74, s1
	;; [unrolled: 3-line block ×6, first 2 shown]
	s_clause 0xe
	global_store_b128 v[86:87], v[8:11], off
	global_store_b128 v[76:77], v[33:36], off
	;; [unrolled: 1-line block ×15, first 2 shown]
	s_and_b32 exec_lo, exec_lo, s0
	s_cbranch_execz .LBB0_34
; %bb.33:
	v_add_nc_u32_e32 v30, 0x1a7, v114
	v_mad_co_u64_u32 v[23:24], null, s16, v20, 0
	v_add_nc_u32_e32 v29, 0x117, v114
	s_delay_alu instid0(VALU_DEP_3) | instskip(SKIP_1) | instid1(VALU_DEP_3)
	v_mad_co_u64_u32 v[27:28], null, s16, v30, 0
	v_add_nc_u32_e32 v8, -9, v114
	v_mad_co_u64_u32 v[25:26], null, s16, v29, 0
	s_delay_alu instid0(VALU_DEP_2) | instskip(NEXT) | instid1(VALU_DEP_1)
	v_cndmask_b32_e32 v8, v8, v119, vcc_lo
	v_lshlrev_b32_e32 v112, 1, v8
	s_delay_alu instid0(VALU_DEP_1) | instskip(NEXT) | instid1(VALU_DEP_1)
	v_lshlrev_b64_e32 v[8:9], 4, v[112:113]
	v_add_co_u32 v12, vcc_lo, s4, v8
	s_wait_alu 0xfffd
	s_delay_alu instid0(VALU_DEP_2)
	v_add_co_ci_u32_e32 v13, vcc_lo, s5, v9, vcc_lo
	s_clause 0x1
	global_load_b128 v[8:11], v[12:13], off offset:2256
	global_load_b128 v[12:15], v[12:13], off offset:2272
	s_wait_loadcnt 0x1
	v_mul_f64_e32 v[16:17], v[6:7], v[10:11]
	s_wait_loadcnt 0x0
	v_mul_f64_e32 v[18:19], v[98:99], v[14:15]
	v_mul_f64_e32 v[10:11], v[2:3], v[10:11]
	;; [unrolled: 1-line block ×3, first 2 shown]
	s_delay_alu instid0(VALU_DEP_4) | instskip(NEXT) | instid1(VALU_DEP_4)
	v_fma_f64 v[2:3], v[2:3], v[8:9], v[16:17]
	v_fma_f64 v[16:17], v[88:89], v[12:13], v[18:19]
	s_delay_alu instid0(VALU_DEP_4) | instskip(NEXT) | instid1(VALU_DEP_4)
	v_fma_f64 v[6:7], v[6:7], v[8:9], -v[10:11]
	v_fma_f64 v[8:9], v[98:99], v[12:13], -v[14:15]
	s_delay_alu instid0(VALU_DEP_4) | instskip(NEXT) | instid1(VALU_DEP_4)
	v_add_f64_e32 v[14:15], v[0:1], v[2:3]
	v_add_f64_e32 v[10:11], v[2:3], v[16:17]
	v_add_f64_e64 v[21:22], v[2:3], -v[16:17]
	s_delay_alu instid0(VALU_DEP_4)
	v_add_f64_e32 v[12:13], v[6:7], v[8:9]
	v_add_f64_e64 v[18:19], v[6:7], -v[8:9]
	v_add_f64_e32 v[6:7], v[4:5], v[6:7]
	v_fma_f64 v[10:11], v[10:11], -0.5, v[0:1]
	v_add_f64_e32 v[0:1], v[14:15], v[16:17]
	v_fma_f64 v[12:13], v[12:13], -0.5, v[4:5]
	v_mad_co_u64_u32 v[14:15], null, s17, v20, v[24:25]
	v_add_f64_e32 v[2:3], v[6:7], v[8:9]
	s_delay_alu instid0(VALU_DEP_2)
	v_mov_b32_e32 v24, v14
	v_fma_f64 v[4:5], v[18:19], s[2:3], v[10:11]
	v_fma_f64 v[8:9], v[18:19], s[6:7], v[10:11]
	;; [unrolled: 1-line block ×4, first 2 shown]
	v_dual_mov_b32 v12, v26 :: v_dual_mov_b32 v13, v28
	s_delay_alu instid0(VALU_DEP_1) | instskip(SKIP_1) | instid1(VALU_DEP_2)
	v_mad_co_u64_u32 v[15:16], null, s17, v29, v[12:13]
	v_mad_co_u64_u32 v[12:13], null, s17, v30, v[13:14]
	v_mov_b32_e32 v26, v15
	s_delay_alu instid0(VALU_DEP_2) | instskip(SKIP_1) | instid1(VALU_DEP_3)
	v_mov_b32_e32 v28, v12
	v_lshlrev_b64_e32 v[12:13], 4, v[23:24]
	v_lshlrev_b64_e32 v[14:15], 4, v[25:26]
	s_delay_alu instid0(VALU_DEP_3) | instskip(NEXT) | instid1(VALU_DEP_3)
	v_lshlrev_b64_e32 v[16:17], 4, v[27:28]
	v_add_co_u32 v12, vcc_lo, v84, v12
	s_wait_alu 0xfffd
	s_delay_alu instid0(VALU_DEP_4) | instskip(NEXT) | instid1(VALU_DEP_4)
	v_add_co_ci_u32_e32 v13, vcc_lo, v85, v13, vcc_lo
	v_add_co_u32 v14, vcc_lo, v84, v14
	s_wait_alu 0xfffd
	v_add_co_ci_u32_e32 v15, vcc_lo, v85, v15, vcc_lo
	v_add_co_u32 v16, vcc_lo, v84, v16
	s_wait_alu 0xfffd
	v_add_co_ci_u32_e32 v17, vcc_lo, v85, v17, vcc_lo
	s_clause 0x2
	global_store_b128 v[12:13], v[0:3], off
	global_store_b128 v[14:15], v[4:7], off
	;; [unrolled: 1-line block ×3, first 2 shown]
.LBB0_34:
	s_nop 0
	s_sendmsg sendmsg(MSG_DEALLOC_VGPRS)
	s_endpgm
	.section	.rodata,"a",@progbits
	.p2align	6, 0x0
	.amdhsa_kernel fft_rtc_back_len432_factors_3_16_3_3_wgs_54_tpt_27_halfLds_dp_op_CI_CI_sbrr_dirReg
		.amdhsa_group_segment_fixed_size 0
		.amdhsa_private_segment_fixed_size 0
		.amdhsa_kernarg_size 104
		.amdhsa_user_sgpr_count 2
		.amdhsa_user_sgpr_dispatch_ptr 0
		.amdhsa_user_sgpr_queue_ptr 0
		.amdhsa_user_sgpr_kernarg_segment_ptr 1
		.amdhsa_user_sgpr_dispatch_id 0
		.amdhsa_user_sgpr_private_segment_size 0
		.amdhsa_wavefront_size32 1
		.amdhsa_uses_dynamic_stack 0
		.amdhsa_enable_private_segment 0
		.amdhsa_system_sgpr_workgroup_id_x 1
		.amdhsa_system_sgpr_workgroup_id_y 0
		.amdhsa_system_sgpr_workgroup_id_z 0
		.amdhsa_system_sgpr_workgroup_info 0
		.amdhsa_system_vgpr_workitem_id 0
		.amdhsa_next_free_vgpr 181
		.amdhsa_next_free_sgpr 43
		.amdhsa_reserve_vcc 1
		.amdhsa_float_round_mode_32 0
		.amdhsa_float_round_mode_16_64 0
		.amdhsa_float_denorm_mode_32 3
		.amdhsa_float_denorm_mode_16_64 3
		.amdhsa_fp16_overflow 0
		.amdhsa_workgroup_processor_mode 1
		.amdhsa_memory_ordered 1
		.amdhsa_forward_progress 0
		.amdhsa_round_robin_scheduling 0
		.amdhsa_exception_fp_ieee_invalid_op 0
		.amdhsa_exception_fp_denorm_src 0
		.amdhsa_exception_fp_ieee_div_zero 0
		.amdhsa_exception_fp_ieee_overflow 0
		.amdhsa_exception_fp_ieee_underflow 0
		.amdhsa_exception_fp_ieee_inexact 0
		.amdhsa_exception_int_div_zero 0
	.end_amdhsa_kernel
	.text
.Lfunc_end0:
	.size	fft_rtc_back_len432_factors_3_16_3_3_wgs_54_tpt_27_halfLds_dp_op_CI_CI_sbrr_dirReg, .Lfunc_end0-fft_rtc_back_len432_factors_3_16_3_3_wgs_54_tpt_27_halfLds_dp_op_CI_CI_sbrr_dirReg
                                        ; -- End function
	.section	.AMDGPU.csdata,"",@progbits
; Kernel info:
; codeLenInByte = 11528
; NumSgprs: 45
; NumVgprs: 181
; ScratchSize: 0
; MemoryBound: 1
; FloatMode: 240
; IeeeMode: 1
; LDSByteSize: 0 bytes/workgroup (compile time only)
; SGPRBlocks: 5
; VGPRBlocks: 22
; NumSGPRsForWavesPerEU: 45
; NumVGPRsForWavesPerEU: 181
; Occupancy: 8
; WaveLimiterHint : 1
; COMPUTE_PGM_RSRC2:SCRATCH_EN: 0
; COMPUTE_PGM_RSRC2:USER_SGPR: 2
; COMPUTE_PGM_RSRC2:TRAP_HANDLER: 0
; COMPUTE_PGM_RSRC2:TGID_X_EN: 1
; COMPUTE_PGM_RSRC2:TGID_Y_EN: 0
; COMPUTE_PGM_RSRC2:TGID_Z_EN: 0
; COMPUTE_PGM_RSRC2:TIDIG_COMP_CNT: 0
	.text
	.p2alignl 7, 3214868480
	.fill 96, 4, 3214868480
	.type	__hip_cuid_948ddf52ece29ea3,@object ; @__hip_cuid_948ddf52ece29ea3
	.section	.bss,"aw",@nobits
	.globl	__hip_cuid_948ddf52ece29ea3
__hip_cuid_948ddf52ece29ea3:
	.byte	0                               ; 0x0
	.size	__hip_cuid_948ddf52ece29ea3, 1

	.ident	"AMD clang version 19.0.0git (https://github.com/RadeonOpenCompute/llvm-project roc-6.4.0 25133 c7fe45cf4b819c5991fe208aaa96edf142730f1d)"
	.section	".note.GNU-stack","",@progbits
	.addrsig
	.addrsig_sym __hip_cuid_948ddf52ece29ea3
	.amdgpu_metadata
---
amdhsa.kernels:
  - .args:
      - .actual_access:  read_only
        .address_space:  global
        .offset:         0
        .size:           8
        .value_kind:     global_buffer
      - .offset:         8
        .size:           8
        .value_kind:     by_value
      - .actual_access:  read_only
        .address_space:  global
        .offset:         16
        .size:           8
        .value_kind:     global_buffer
      - .actual_access:  read_only
        .address_space:  global
        .offset:         24
        .size:           8
        .value_kind:     global_buffer
      - .actual_access:  read_only
        .address_space:  global
        .offset:         32
        .size:           8
        .value_kind:     global_buffer
      - .offset:         40
        .size:           8
        .value_kind:     by_value
      - .actual_access:  read_only
        .address_space:  global
        .offset:         48
        .size:           8
        .value_kind:     global_buffer
      - .actual_access:  read_only
        .address_space:  global
        .offset:         56
        .size:           8
        .value_kind:     global_buffer
      - .offset:         64
        .size:           4
        .value_kind:     by_value
      - .actual_access:  read_only
        .address_space:  global
        .offset:         72
        .size:           8
        .value_kind:     global_buffer
      - .actual_access:  read_only
        .address_space:  global
        .offset:         80
        .size:           8
        .value_kind:     global_buffer
      - .actual_access:  read_only
        .address_space:  global
        .offset:         88
        .size:           8
        .value_kind:     global_buffer
      - .actual_access:  write_only
        .address_space:  global
        .offset:         96
        .size:           8
        .value_kind:     global_buffer
    .group_segment_fixed_size: 0
    .kernarg_segment_align: 8
    .kernarg_segment_size: 104
    .language:       OpenCL C
    .language_version:
      - 2
      - 0
    .max_flat_workgroup_size: 54
    .name:           fft_rtc_back_len432_factors_3_16_3_3_wgs_54_tpt_27_halfLds_dp_op_CI_CI_sbrr_dirReg
    .private_segment_fixed_size: 0
    .sgpr_count:     45
    .sgpr_spill_count: 0
    .symbol:         fft_rtc_back_len432_factors_3_16_3_3_wgs_54_tpt_27_halfLds_dp_op_CI_CI_sbrr_dirReg.kd
    .uniform_work_group_size: 1
    .uses_dynamic_stack: false
    .vgpr_count:     181
    .vgpr_spill_count: 0
    .wavefront_size: 32
    .workgroup_processor_mode: 1
amdhsa.target:   amdgcn-amd-amdhsa--gfx1201
amdhsa.version:
  - 1
  - 2
...

	.end_amdgpu_metadata
